;; amdgpu-corpus repo=ROCm/rocFFT kind=compiled arch=gfx906 opt=O3
	.text
	.amdgcn_target "amdgcn-amd-amdhsa--gfx906"
	.amdhsa_code_object_version 6
	.protected	fft_rtc_back_len924_factors_2_2_3_7_11_wgs_44_tpt_44_halfLds_half_ip_CI_sbrr_dirReg ; -- Begin function fft_rtc_back_len924_factors_2_2_3_7_11_wgs_44_tpt_44_halfLds_half_ip_CI_sbrr_dirReg
	.globl	fft_rtc_back_len924_factors_2_2_3_7_11_wgs_44_tpt_44_halfLds_half_ip_CI_sbrr_dirReg
	.p2align	8
	.type	fft_rtc_back_len924_factors_2_2_3_7_11_wgs_44_tpt_44_halfLds_half_ip_CI_sbrr_dirReg,@function
fft_rtc_back_len924_factors_2_2_3_7_11_wgs_44_tpt_44_halfLds_half_ip_CI_sbrr_dirReg: ; @fft_rtc_back_len924_factors_2_2_3_7_11_wgs_44_tpt_44_halfLds_half_ip_CI_sbrr_dirReg
; %bb.0:
	s_load_dwordx2 s[14:15], s[4:5], 0x18
	s_load_dwordx4 s[8:11], s[4:5], 0x0
	s_load_dwordx2 s[12:13], s[4:5], 0x50
	v_mul_u32_u24_e32 v1, 0x5d2, v0
	v_add_u32_sdwa v5, s6, v1 dst_sel:DWORD dst_unused:UNUSED_PAD src0_sel:DWORD src1_sel:WORD_1
	s_waitcnt lgkmcnt(0)
	s_load_dwordx2 s[2:3], s[14:15], 0x0
	v_cmp_lt_u64_e64 s[0:1], s[10:11], 2
	v_mov_b32_e32 v3, 0
	v_mov_b32_e32 v1, 0
	;; [unrolled: 1-line block ×3, first 2 shown]
	s_and_b64 vcc, exec, s[0:1]
	v_mov_b32_e32 v2, 0
	s_cbranch_vccnz .LBB0_8
; %bb.1:
	s_load_dwordx2 s[0:1], s[4:5], 0x10
	s_add_u32 s6, s14, 8
	s_addc_u32 s7, s15, 0
	v_mov_b32_e32 v1, 0
	v_mov_b32_e32 v2, 0
	s_waitcnt lgkmcnt(0)
	s_add_u32 s16, s0, 8
	s_addc_u32 s17, s1, 0
	s_mov_b64 s[18:19], 1
.LBB0_2:                                ; =>This Inner Loop Header: Depth=1
	s_load_dwordx2 s[20:21], s[16:17], 0x0
                                        ; implicit-def: $vgpr7_vgpr8
	s_waitcnt lgkmcnt(0)
	v_or_b32_e32 v4, s21, v6
	v_cmp_ne_u64_e32 vcc, 0, v[3:4]
	s_and_saveexec_b64 s[0:1], vcc
	s_xor_b64 s[22:23], exec, s[0:1]
	s_cbranch_execz .LBB0_4
; %bb.3:                                ;   in Loop: Header=BB0_2 Depth=1
	v_cvt_f32_u32_e32 v4, s20
	v_cvt_f32_u32_e32 v7, s21
	s_sub_u32 s0, 0, s20
	s_subb_u32 s1, 0, s21
	v_mac_f32_e32 v4, 0x4f800000, v7
	v_rcp_f32_e32 v4, v4
	v_mul_f32_e32 v4, 0x5f7ffffc, v4
	v_mul_f32_e32 v7, 0x2f800000, v4
	v_trunc_f32_e32 v7, v7
	v_mac_f32_e32 v4, 0xcf800000, v7
	v_cvt_u32_f32_e32 v7, v7
	v_cvt_u32_f32_e32 v4, v4
	v_mul_lo_u32 v8, s0, v7
	v_mul_hi_u32 v9, s0, v4
	v_mul_lo_u32 v11, s1, v4
	v_mul_lo_u32 v10, s0, v4
	v_add_u32_e32 v8, v9, v8
	v_add_u32_e32 v8, v8, v11
	v_mul_hi_u32 v9, v4, v10
	v_mul_lo_u32 v11, v4, v8
	v_mul_hi_u32 v13, v4, v8
	v_mul_hi_u32 v12, v7, v10
	v_mul_lo_u32 v10, v7, v10
	v_mul_hi_u32 v14, v7, v8
	v_add_co_u32_e32 v9, vcc, v9, v11
	v_addc_co_u32_e32 v11, vcc, 0, v13, vcc
	v_mul_lo_u32 v8, v7, v8
	v_add_co_u32_e32 v9, vcc, v9, v10
	v_addc_co_u32_e32 v9, vcc, v11, v12, vcc
	v_addc_co_u32_e32 v10, vcc, 0, v14, vcc
	v_add_co_u32_e32 v8, vcc, v9, v8
	v_addc_co_u32_e32 v9, vcc, 0, v10, vcc
	v_add_co_u32_e32 v4, vcc, v4, v8
	v_addc_co_u32_e32 v7, vcc, v7, v9, vcc
	v_mul_lo_u32 v8, s0, v7
	v_mul_hi_u32 v9, s0, v4
	v_mul_lo_u32 v10, s1, v4
	v_mul_lo_u32 v11, s0, v4
	v_add_u32_e32 v8, v9, v8
	v_add_u32_e32 v8, v8, v10
	v_mul_lo_u32 v12, v4, v8
	v_mul_hi_u32 v13, v4, v11
	v_mul_hi_u32 v14, v4, v8
	;; [unrolled: 1-line block ×3, first 2 shown]
	v_mul_lo_u32 v11, v7, v11
	v_mul_hi_u32 v9, v7, v8
	v_add_co_u32_e32 v12, vcc, v13, v12
	v_addc_co_u32_e32 v13, vcc, 0, v14, vcc
	v_mul_lo_u32 v8, v7, v8
	v_add_co_u32_e32 v11, vcc, v12, v11
	v_addc_co_u32_e32 v10, vcc, v13, v10, vcc
	v_addc_co_u32_e32 v9, vcc, 0, v9, vcc
	v_add_co_u32_e32 v8, vcc, v10, v8
	v_addc_co_u32_e32 v9, vcc, 0, v9, vcc
	v_add_co_u32_e32 v4, vcc, v4, v8
	v_addc_co_u32_e32 v9, vcc, v7, v9, vcc
	v_mad_u64_u32 v[7:8], s[0:1], v5, v9, 0
	v_mul_hi_u32 v10, v5, v4
	v_add_co_u32_e32 v11, vcc, v10, v7
	v_addc_co_u32_e32 v12, vcc, 0, v8, vcc
	v_mad_u64_u32 v[7:8], s[0:1], v6, v4, 0
	v_mad_u64_u32 v[9:10], s[0:1], v6, v9, 0
	v_add_co_u32_e32 v4, vcc, v11, v7
	v_addc_co_u32_e32 v4, vcc, v12, v8, vcc
	v_addc_co_u32_e32 v7, vcc, 0, v10, vcc
	v_add_co_u32_e32 v4, vcc, v4, v9
	v_addc_co_u32_e32 v9, vcc, 0, v7, vcc
	v_mul_lo_u32 v10, s21, v4
	v_mul_lo_u32 v11, s20, v9
	v_mad_u64_u32 v[7:8], s[0:1], s20, v4, 0
	v_add3_u32 v8, v8, v11, v10
	v_sub_u32_e32 v10, v6, v8
	v_mov_b32_e32 v11, s21
	v_sub_co_u32_e32 v7, vcc, v5, v7
	v_subb_co_u32_e64 v10, s[0:1], v10, v11, vcc
	v_subrev_co_u32_e64 v11, s[0:1], s20, v7
	v_subbrev_co_u32_e64 v10, s[0:1], 0, v10, s[0:1]
	v_cmp_le_u32_e64 s[0:1], s21, v10
	v_cndmask_b32_e64 v12, 0, -1, s[0:1]
	v_cmp_le_u32_e64 s[0:1], s20, v11
	v_cndmask_b32_e64 v11, 0, -1, s[0:1]
	v_cmp_eq_u32_e64 s[0:1], s21, v10
	v_cndmask_b32_e64 v10, v12, v11, s[0:1]
	v_add_co_u32_e64 v11, s[0:1], 2, v4
	v_addc_co_u32_e64 v12, s[0:1], 0, v9, s[0:1]
	v_add_co_u32_e64 v13, s[0:1], 1, v4
	v_addc_co_u32_e64 v14, s[0:1], 0, v9, s[0:1]
	v_subb_co_u32_e32 v8, vcc, v6, v8, vcc
	v_cmp_ne_u32_e64 s[0:1], 0, v10
	v_cmp_le_u32_e32 vcc, s21, v8
	v_cndmask_b32_e64 v10, v14, v12, s[0:1]
	v_cndmask_b32_e64 v12, 0, -1, vcc
	v_cmp_le_u32_e32 vcc, s20, v7
	v_cndmask_b32_e64 v7, 0, -1, vcc
	v_cmp_eq_u32_e32 vcc, s21, v8
	v_cndmask_b32_e32 v7, v12, v7, vcc
	v_cmp_ne_u32_e32 vcc, 0, v7
	v_cndmask_b32_e64 v7, v13, v11, s[0:1]
	v_cndmask_b32_e32 v8, v9, v10, vcc
	v_cndmask_b32_e32 v7, v4, v7, vcc
.LBB0_4:                                ;   in Loop: Header=BB0_2 Depth=1
	s_andn2_saveexec_b64 s[0:1], s[22:23]
	s_cbranch_execz .LBB0_6
; %bb.5:                                ;   in Loop: Header=BB0_2 Depth=1
	v_cvt_f32_u32_e32 v4, s20
	s_sub_i32 s22, 0, s20
	v_rcp_iflag_f32_e32 v4, v4
	v_mul_f32_e32 v4, 0x4f7ffffe, v4
	v_cvt_u32_f32_e32 v4, v4
	v_mul_lo_u32 v7, s22, v4
	v_mul_hi_u32 v7, v4, v7
	v_add_u32_e32 v4, v4, v7
	v_mul_hi_u32 v4, v5, v4
	v_mul_lo_u32 v7, v4, s20
	v_add_u32_e32 v8, 1, v4
	v_sub_u32_e32 v7, v5, v7
	v_subrev_u32_e32 v9, s20, v7
	v_cmp_le_u32_e32 vcc, s20, v7
	v_cndmask_b32_e32 v7, v7, v9, vcc
	v_cndmask_b32_e32 v4, v4, v8, vcc
	v_add_u32_e32 v8, 1, v4
	v_cmp_le_u32_e32 vcc, s20, v7
	v_cndmask_b32_e32 v7, v4, v8, vcc
	v_mov_b32_e32 v8, v3
.LBB0_6:                                ;   in Loop: Header=BB0_2 Depth=1
	s_or_b64 exec, exec, s[0:1]
	v_mul_lo_u32 v4, v8, s20
	v_mul_lo_u32 v11, v7, s21
	v_mad_u64_u32 v[9:10], s[0:1], v7, s20, 0
	s_load_dwordx2 s[0:1], s[6:7], 0x0
	s_add_u32 s18, s18, 1
	v_add3_u32 v4, v10, v11, v4
	v_sub_co_u32_e32 v5, vcc, v5, v9
	v_subb_co_u32_e32 v4, vcc, v6, v4, vcc
	s_waitcnt lgkmcnt(0)
	v_mul_lo_u32 v4, s0, v4
	v_mul_lo_u32 v6, s1, v5
	v_mad_u64_u32 v[1:2], s[0:1], s0, v5, v[1:2]
	s_addc_u32 s19, s19, 0
	s_add_u32 s6, s6, 8
	v_add3_u32 v2, v6, v2, v4
	v_mov_b32_e32 v4, s10
	v_mov_b32_e32 v5, s11
	s_addc_u32 s7, s7, 0
	v_cmp_ge_u64_e32 vcc, s[18:19], v[4:5]
	s_add_u32 s16, s16, 8
	s_addc_u32 s17, s17, 0
	s_cbranch_vccnz .LBB0_9
; %bb.7:                                ;   in Loop: Header=BB0_2 Depth=1
	v_mov_b32_e32 v5, v7
	v_mov_b32_e32 v6, v8
	s_branch .LBB0_2
.LBB0_8:
	v_mov_b32_e32 v8, v6
	v_mov_b32_e32 v7, v5
.LBB0_9:
	s_lshl_b64 s[0:1], s[10:11], 3
	s_add_u32 s0, s14, s0
	s_addc_u32 s1, s15, s1
	s_load_dwordx2 s[6:7], s[0:1], 0x0
	s_load_dwordx2 s[10:11], s[4:5], 0x20
                                        ; implicit-def: $vgpr6
                                        ; implicit-def: $vgpr9
                                        ; implicit-def: $vgpr10
                                        ; implicit-def: $vgpr11
                                        ; implicit-def: $vgpr12
                                        ; implicit-def: $vgpr18
                                        ; implicit-def: $vgpr19
	s_waitcnt lgkmcnt(0)
	v_mad_u64_u32 v[1:2], s[0:1], s6, v7, v[1:2]
	s_mov_b32 s0, 0x5d1745e
	v_mul_lo_u32 v3, s6, v8
	v_mul_lo_u32 v4, s7, v7
	v_mul_hi_u32 v5, v0, s0
	v_cmp_gt_u64_e32 vcc, s[10:11], v[7:8]
	v_cmp_le_u64_e64 s[0:1], s[10:11], v[7:8]
	v_add3_u32 v2, v4, v2, v3
	v_mul_u32_u24_e32 v3, 44, v5
	v_sub_u32_e32 v3, v0, v3
                                        ; implicit-def: $sgpr6
                                        ; implicit-def: $vgpr4
                                        ; implicit-def: $vgpr5
	s_and_saveexec_b64 s[4:5], s[0:1]
	s_xor_b64 s[0:1], exec, s[4:5]
; %bb.10:
	v_add_u32_e32 v4, 44, v3
	v_add_u32_e32 v6, 0x58, v3
	;; [unrolled: 1-line block ×9, first 2 shown]
	s_mov_b32 s6, 0
; %bb.11:
	s_or_saveexec_b64 s[4:5], s[0:1]
	v_lshlrev_b64 v[0:1], 2, v[1:2]
	v_mov_b32_e32 v21, s6
	v_mov_b32_e32 v45, s6
                                        ; implicit-def: $vgpr23
                                        ; implicit-def: $vgpr2
                                        ; implicit-def: $vgpr24
                                        ; implicit-def: $vgpr7
                                        ; implicit-def: $vgpr25
                                        ; implicit-def: $vgpr8
                                        ; implicit-def: $vgpr28
                                        ; implicit-def: $vgpr13
                                        ; implicit-def: $vgpr30
                                        ; implicit-def: $vgpr14
                                        ; implicit-def: $vgpr37
                                        ; implicit-def: $vgpr15
                                        ; implicit-def: $vgpr38
                                        ; implicit-def: $vgpr16
                                        ; implicit-def: $vgpr40
                                        ; implicit-def: $vgpr17
                                        ; implicit-def: $vgpr41
                                        ; implicit-def: $vgpr26
                                        ; implicit-def: $vgpr50
                                        ; implicit-def: $vgpr27
                                        ; implicit-def: $vgpr51
                                        ; implicit-def: $vgpr29
                                        ; implicit-def: $vgpr56
                                        ; implicit-def: $vgpr31
                                        ; implicit-def: $vgpr57
                                        ; implicit-def: $vgpr32
                                        ; implicit-def: $vgpr58
                                        ; implicit-def: $vgpr33
                                        ; implicit-def: $vgpr59
                                        ; implicit-def: $vgpr34
                                        ; implicit-def: $vgpr64
                                        ; implicit-def: $vgpr35
                                        ; implicit-def: $vgpr65
                                        ; implicit-def: $vgpr36
                                        ; implicit-def: $vgpr67
                                        ; implicit-def: $vgpr39
                                        ; implicit-def: $vgpr68
                                        ; implicit-def: $vgpr43
                                        ; implicit-def: $vgpr69
                                        ; implicit-def: $vgpr44
                                        ; implicit-def: $vgpr42
                                        ; implicit-def: $vgpr46
	s_xor_b64 exec, exec, s[4:5]
	s_cbranch_execz .LBB0_15
; %bb.12:
	v_mad_u64_u32 v[4:5], s[0:1], s2, v3, 0
	v_add_u32_e32 v10, 0x1ce, v3
	v_mov_b32_e32 v8, s13
	v_mov_b32_e32 v2, v5
	v_mad_u64_u32 v[5:6], s[0:1], s3, v3, v[2:3]
	v_mad_u64_u32 v[6:7], s[0:1], s2, v10, 0
	v_add_co_u32_e64 v20, s[0:1], s12, v0
	v_mov_b32_e32 v2, v7
	v_addc_co_u32_e64 v22, s[0:1], v8, v1, s[0:1]
	v_lshlrev_b64 v[8:9], 2, v[4:5]
	v_mad_u64_u32 v[10:11], s[0:1], s3, v10, v[2:3]
	v_add_u32_e32 v4, 44, v3
	v_mad_u64_u32 v[11:12], s[0:1], s2, v4, 0
	v_add_co_u32_e64 v18, s[0:1], v20, v8
	v_mov_b32_e32 v7, v10
	v_mov_b32_e32 v2, v12
	v_addc_co_u32_e64 v19, s[0:1], v22, v9, s[0:1]
	v_lshlrev_b64 v[5:6], 2, v[6:7]
	v_mad_u64_u32 v[7:8], s[0:1], s3, v4, v[2:3]
	v_add_u32_e32 v13, 0x1fa, v3
	v_mad_u64_u32 v[8:9], s[0:1], s2, v13, 0
	v_add_co_u32_e64 v23, s[0:1], v20, v5
	v_mov_b32_e32 v2, v9
	v_addc_co_u32_e64 v24, s[0:1], v22, v6, s[0:1]
	v_mad_u64_u32 v[5:6], s[0:1], s3, v13, v[2:3]
	v_mov_b32_e32 v12, v7
	v_add_u32_e32 v6, 0x58, v3
	v_lshlrev_b64 v[10:11], 2, v[11:12]
	v_mad_u64_u32 v[12:13], s[0:1], s2, v6, 0
	v_add_co_u32_e64 v25, s[0:1], v20, v10
	v_mov_b32_e32 v9, v5
	v_mov_b32_e32 v2, v13
	v_addc_co_u32_e64 v26, s[0:1], v22, v11, s[0:1]
	v_lshlrev_b64 v[7:8], 2, v[8:9]
	v_mad_u64_u32 v[9:10], s[0:1], s3, v6, v[2:3]
	v_add_u32_e32 v5, 0x226, v3
	v_mad_u64_u32 v[10:11], s[0:1], s2, v5, 0
	v_add_co_u32_e64 v27, s[0:1], v20, v7
	v_mov_b32_e32 v13, v9
	v_mov_b32_e32 v2, v11
	v_addc_co_u32_e64 v28, s[0:1], v22, v8, s[0:1]
	v_lshlrev_b64 v[7:8], 2, v[12:13]
	v_mad_u64_u32 v[11:12], s[0:1], s3, v5, v[2:3]
	v_add_u32_e32 v9, 0x84, v3
	v_mad_u64_u32 v[12:13], s[0:1], s2, v9, 0
	v_add_co_u32_e64 v29, s[0:1], v20, v7
	v_add_u32_e32 v5, 0x252, v3
	v_addc_co_u32_e64 v30, s[0:1], v22, v8, s[0:1]
	v_mov_b32_e32 v2, v13
	v_mad_u64_u32 v[14:15], s[0:1], s2, v5, 0
	v_lshlrev_b64 v[7:8], 2, v[10:11]
	v_mad_u64_u32 v[10:11], s[0:1], s3, v9, v[2:3]
	v_add_co_u32_e64 v31, s[0:1], v20, v7
	v_mov_b32_e32 v2, v15
	v_addc_co_u32_e64 v32, s[0:1], v22, v8, s[0:1]
	v_mov_b32_e32 v13, v10
	v_mad_u64_u32 v[10:11], s[0:1], s3, v5, v[2:3]
	v_lshlrev_b64 v[7:8], 2, v[12:13]
	v_add_u32_e32 v21, 0x27e, v3
	v_add_co_u32_e64 v11, s[0:1], v20, v7
	v_mov_b32_e32 v15, v10
	v_add_u32_e32 v10, 0xb0, v3
	v_addc_co_u32_e64 v12, s[0:1], v22, v8, s[0:1]
	v_mad_u64_u32 v[33:34], s[0:1], s2, v10, 0
	v_lshlrev_b64 v[7:8], 2, v[14:15]
	v_add_co_u32_e64 v35, s[0:1], v20, v7
	v_mov_b32_e32 v2, v34
	v_addc_co_u32_e64 v36, s[0:1], v22, v8, s[0:1]
	v_mad_u64_u32 v[37:38], s[0:1], s3, v10, v[2:3]
	v_mad_u64_u32 v[38:39], s[0:1], s2, v21, 0
	global_load_dword v2, v[18:19], off
	global_load_dword v7, v[23:24], off
	;; [unrolled: 1-line block ×8, first 2 shown]
	v_add_u32_e32 v11, 0xdc, v3
	v_mov_b32_e32 v5, v39
	v_mad_u64_u32 v[23:24], s[0:1], s3, v21, v[5:6]
	v_mad_u64_u32 v[24:25], s[0:1], s2, v11, 0
	v_mov_b32_e32 v34, v37
	v_lshlrev_b64 v[18:19], 2, v[33:34]
	v_mov_b32_e32 v5, v25
	v_add_co_u32_e64 v36, s[0:1], v20, v18
	v_addc_co_u32_e64 v37, s[0:1], v22, v19, s[0:1]
	v_mad_u64_u32 v[25:26], s[0:1], s3, v11, v[5:6]
	v_add_u32_e32 v12, 0x2aa, v3
	v_mad_u64_u32 v[26:27], s[0:1], s2, v12, 0
	v_mov_b32_e32 v39, v23
	v_lshlrev_b64 v[18:19], 2, v[38:39]
	v_mov_b32_e32 v5, v27
	v_add_co_u32_e64 v38, s[0:1], v20, v18
	v_addc_co_u32_e64 v39, s[0:1], v22, v19, s[0:1]
	v_lshlrev_b64 v[18:19], 2, v[24:25]
	v_mad_u64_u32 v[23:24], s[0:1], s3, v12, v[5:6]
	v_add_u32_e32 v12, 0x108, v3
	v_mad_u64_u32 v[24:25], s[0:1], s2, v12, 0
	v_add_co_u32_e64 v40, s[0:1], v20, v18
	v_mov_b32_e32 v27, v23
	v_mov_b32_e32 v5, v25
	v_addc_co_u32_e64 v41, s[0:1], v22, v19, s[0:1]
	v_lshlrev_b64 v[18:19], 2, v[26:27]
	v_mad_u64_u32 v[25:26], s[0:1], s3, v12, v[5:6]
	v_add_u32_e32 v21, 0x2d6, v3
	v_mad_u64_u32 v[26:27], s[0:1], s2, v21, 0
	v_add_co_u32_e64 v42, s[0:1], v20, v18
	v_mov_b32_e32 v5, v27
	v_addc_co_u32_e64 v43, s[0:1], v22, v19, s[0:1]
	v_lshlrev_b64 v[18:19], 2, v[24:25]
	v_mad_u64_u32 v[23:24], s[0:1], s3, v21, v[5:6]
	v_add_u32_e32 v5, 0x134, v3
	v_mad_u64_u32 v[24:25], s[0:1], s2, v5, 0
	v_add_co_u32_e64 v44, s[0:1], v20, v18
	v_mov_b32_e32 v27, v23
	v_mov_b32_e32 v21, v25
	v_addc_co_u32_e64 v45, s[0:1], v22, v19, s[0:1]
	v_lshlrev_b64 v[18:19], 2, v[26:27]
	v_mad_u64_u32 v[25:26], s[0:1], s3, v5, v[21:22]
	v_add_u32_e32 v23, 0x302, v3
	v_mad_u64_u32 v[26:27], s[0:1], s2, v23, 0
	v_add_co_u32_e64 v46, s[0:1], v20, v18
	v_mov_b32_e32 v21, v27
	v_addc_co_u32_e64 v47, s[0:1], v22, v19, s[0:1]
	v_lshlrev_b64 v[18:19], 2, v[24:25]
	v_mad_u64_u32 v[23:24], s[0:1], s3, v23, v[21:22]
	v_add_co_u32_e64 v24, s[0:1], v20, v18
	v_mov_b32_e32 v27, v23
	v_lshlrev_b64 v[26:27], 2, v[26:27]
	v_add_u32_e32 v18, 0x160, v3
	v_addc_co_u32_e64 v25, s[0:1], v22, v19, s[0:1]
	v_mad_u64_u32 v[48:49], s[0:1], s2, v18, 0
	v_add_co_u32_e64 v50, s[0:1], v20, v26
	v_add_u32_e32 v21, 0x32e, v3
	v_addc_co_u32_e64 v51, s[0:1], v22, v27, s[0:1]
	v_mad_u64_u32 v[52:53], s[0:1], s2, v21, 0
	v_mov_b32_e32 v19, v49
	v_mad_u64_u32 v[28:29], s[0:1], s3, v18, v[19:20]
	v_mov_b32_e32 v19, v53
	global_load_dword v26, v[36:37], off
	global_load_dword v27, v[38:39], off
	;; [unrolled: 1-line block ×8, first 2 shown]
	v_mad_u64_u32 v[36:37], s[0:1], s3, v21, v[19:20]
	v_add_u32_e32 v19, 0x18c, v3
	v_mad_u64_u32 v[37:38], s[0:1], s2, v19, 0
	v_mov_b32_e32 v49, v28
	v_lshlrev_b64 v[23:24], 2, v[48:49]
	v_mov_b32_e32 v21, v38
	v_add_co_u32_e64 v23, s[0:1], v20, v23
	v_addc_co_u32_e64 v24, s[0:1], v22, v24, s[0:1]
	v_mad_u64_u32 v[41:42], s[0:1], s3, v19, v[21:22]
	v_add_u32_e32 v25, 0x35a, v3
	v_mad_u64_u32 v[42:43], s[0:1], s2, v25, 0
	v_mov_b32_e32 v53, v36
	v_lshlrev_b64 v[39:40], 2, v[52:53]
	v_mov_b32_e32 v38, v41
	v_add_co_u32_e64 v45, s[0:1], v20, v39
	v_mov_b32_e32 v21, v43
	v_addc_co_u32_e64 v46, s[0:1], v22, v40, s[0:1]
	v_lshlrev_b64 v[36:37], 2, v[37:38]
	v_mad_u64_u32 v[38:39], s[0:1], s3, v25, v[21:22]
	v_add_co_u32_e64 v40, s[0:1], v20, v36
	v_mov_b32_e32 v43, v38
	v_addc_co_u32_e64 v41, s[0:1], v22, v37, s[0:1]
	v_lshlrev_b64 v[36:37], 2, v[42:43]
	v_mov_b32_e32 v21, 0
	v_add_co_u32_e64 v47, s[0:1], v20, v36
	v_addc_co_u32_e64 v48, s[0:1], v22, v37, s[0:1]
	global_load_dword v36, v[23:24], off
	global_load_dword v39, v[45:46], off
	global_load_dword v43, v[40:41], off
	global_load_dword v44, v[47:48], off
	v_cmp_gt_u32_e64 s[0:1], 22, v3
	v_mov_b32_e32 v45, 0
                                        ; implicit-def: $vgpr46
                                        ; implicit-def: $vgpr42
	s_and_saveexec_b64 s[6:7], s[0:1]
	s_cbranch_execz .LBB0_14
; %bb.13:
	v_add_u32_e32 v25, 0x1b8, v3
	v_mad_u64_u32 v[23:24], s[0:1], s2, v25, 0
	v_add_u32_e32 v28, 0x386, v3
	v_mad_u64_u32 v[37:38], s[0:1], s2, v28, 0
	v_mov_b32_e32 v21, v24
	v_mad_u64_u32 v[24:25], s[0:1], s3, v25, v[21:22]
	v_mov_b32_e32 v21, v38
	v_mad_u64_u32 v[40:41], s[0:1], s3, v28, v[21:22]
	v_lshlrev_b64 v[23:24], 2, v[23:24]
	v_mov_b32_e32 v38, v40
	v_add_co_u32_e64 v23, s[0:1], v20, v23
	v_lshlrev_b64 v[37:38], 2, v[37:38]
	v_addc_co_u32_e64 v24, s[0:1], v22, v24, s[0:1]
	v_add_co_u32_e64 v20, s[0:1], v20, v37
	v_addc_co_u32_e64 v21, s[0:1], v22, v38, s[0:1]
	global_load_dword v45, v[23:24], off
	global_load_dword v46, v[20:21], off
	s_waitcnt vmcnt(1)
	v_lshrrev_b32_e32 v21, 16, v45
	s_waitcnt vmcnt(0)
	v_lshrrev_b32_e32 v42, 16, v46
.LBB0_14:
	s_or_b64 exec, exec, s[6:7]
	s_waitcnt vmcnt(19)
	v_lshrrev_b32_e32 v23, 16, v2
	s_waitcnt vmcnt(18)
	v_lshrrev_b32_e32 v24, 16, v7
	;; [unrolled: 2-line block ×20, first 2 shown]
.LBB0_15:
	s_or_b64 exec, exec, s[4:5]
	v_sub_f16_e32 v7, v2, v7
	v_fma_f16 v2, v2, 2.0, -v7
	v_sub_f16_e32 v13, v8, v13
	v_sub_f16_e32 v15, v14, v15
	v_fma_f16 v8, v8, 2.0, -v13
	v_fma_f16 v14, v14, 2.0, -v15
	v_sub_f16_e32 v22, v16, v17
	v_lshl_add_u32 v74, v3, 2, 0
	v_pack_b32_f16 v2, v2, v7
	v_fma_f16 v16, v16, 2.0, -v22
	v_sub_f16_e32 v27, v26, v27
	ds_write_b32 v74, v2
	v_lshl_add_u32 v75, v4, 2, 0
	v_pack_b32_f16 v2, v8, v13
	v_lshl_add_u32 v13, v6, 2, 0
	v_pack_b32_f16 v7, v14, v15
	v_fma_f16 v26, v26, 2.0, -v27
	v_sub_f16_e32 v31, v29, v31
	ds_write_b32 v75, v2
	ds_write_b32 v13, v7
	v_lshl_add_u32 v14, v9, 2, 0
	v_pack_b32_f16 v7, v16, v22
	v_fma_f16 v29, v29, 2.0, -v31
	v_sub_f16_e32 v33, v32, v33
	v_sub_f16_e32 v35, v34, v35
	ds_write_b32 v14, v7
	v_lshl_add_u32 v70, v10, 2, 0
	v_pack_b32_f16 v7, v26, v27
	v_fma_f16 v32, v32, 2.0, -v33
	v_fma_f16 v34, v34, 2.0, -v35
	v_sub_f16_e32 v39, v36, v39
	ds_write_b32 v70, v7
	v_lshl_add_u32 v73, v11, 2, 0
	v_pack_b32_f16 v7, v29, v31
	v_fma_f16 v36, v36, 2.0, -v39
	v_sub_f16_e32 v44, v43, v44
	ds_write_b32 v73, v7
	v_lshl_add_u32 v15, v12, 2, 0
	v_pack_b32_f16 v7, v32, v33
	v_lshlrev_b32_e32 v53, 1, v5
	v_lshl_add_u32 v16, v5, 2, 0
	v_pack_b32_f16 v5, v34, v35
	v_fma_f16 v47, v43, 2.0, -v44
	v_sub_f16_e32 v17, v45, v46
	ds_write_b32 v15, v7
	ds_write_b32 v16, v5
	v_lshl_add_u32 v71, v18, 2, 0
	v_pack_b32_f16 v5, v36, v39
	v_add_u32_e32 v22, 0x1b8, v3
	v_fma_f16 v20, v45, 2.0, -v17
	v_lshlrev_b32_e32 v2, 1, v6
	v_lshlrev_b32_e32 v43, 1, v9
	;; [unrolled: 1-line block ×6, first 2 shown]
	ds_write_b32 v71, v5
	v_lshlrev_b32_e32 v5, 1, v19
	v_lshl_add_u32 v72, v19, 2, 0
	v_pack_b32_f16 v7, v47, v44
	v_cmp_gt_u32_e64 s[0:1], 22, v3
	v_lshl_add_u32 v19, v22, 2, 0
	ds_write_b32 v72, v7
	s_and_saveexec_b64 s[4:5], s[0:1]
	s_cbranch_execz .LBB0_17
; %bb.16:
	s_mov_b32 s6, 0x5040100
	v_perm_b32 v7, v17, v20, s6
	ds_write_b32 v19, v7
.LBB0_17:
	s_or_b64 exec, exec, s[4:5]
	v_lshl_add_u32 v7, v3, 1, 0
	v_sub_u32_e32 v18, v13, v2
	v_sub_u32_e32 v26, v14, v43
	;; [unrolled: 1-line block ×4, first 2 shown]
	s_waitcnt lgkmcnt(0)
	; wave barrier
	s_waitcnt lgkmcnt(0)
	ds_read_u16 v44, v18
	ds_read_u16 v45, v26
	;; [unrolled: 1-line block ×5, first 2 shown]
	ds_read_u16 v36, v7 offset:924
	ds_read_u16 v35, v7 offset:1012
	;; [unrolled: 1-line block ×7, first 2 shown]
	v_sub_u32_e32 v18, v15, v52
	v_sub_u32_e32 v39, v16, v53
	;; [unrolled: 1-line block ×4, first 2 shown]
	v_lshl_add_u32 v8, v4, 1, 0
	ds_read_u16 v33, v7 offset:1540
	ds_read_u16 v34, v7 offset:1628
	ds_read_u16 v60, v18
	ds_read_u16 v61, v39
	;; [unrolled: 1-line block ×5, first 2 shown]
	ds_read_u16 v39, v7 offset:1716
	s_and_saveexec_b64 s[4:5], s[0:1]
	s_cbranch_execz .LBB0_19
; %bb.18:
	ds_read_u16 v20, v7 offset:880
	ds_read_u16 v17, v7 offset:1804
.LBB0_19:
	s_or_b64 exec, exec, s[4:5]
	v_sub_f16_e32 v84, v23, v24
	v_fma_f16 v23, v23, 2.0, -v84
	v_sub_f16_e32 v28, v25, v28
	v_sub_f16_e32 v24, v21, v42
	v_fma_f16 v25, v25, 2.0, -v28
	v_sub_f16_e32 v37, v30, v37
	v_fma_f16 v18, v21, 2.0, -v24
	v_pack_b32_f16 v21, v23, v84
	v_fma_f16 v30, v30, 2.0, -v37
	v_sub_f16_e32 v40, v38, v40
	s_waitcnt lgkmcnt(0)
	; wave barrier
	s_waitcnt lgkmcnt(0)
	ds_write_b32 v74, v21
	v_pack_b32_f16 v21, v25, v28
	v_fma_f16 v38, v38, 2.0, -v40
	v_sub_f16_e32 v50, v41, v50
	ds_write_b32 v75, v21
	v_pack_b32_f16 v21, v30, v37
	v_fma_f16 v41, v41, 2.0, -v50
	v_sub_f16_e32 v56, v51, v56
	;; [unrolled: 4-line block ×6, first 2 shown]
	ds_write_b32 v15, v21
	v_pack_b32_f16 v21, v59, v64
	v_fma_f16 v68, v68, 2.0, -v69
	ds_write_b32 v16, v21
	v_pack_b32_f16 v21, v65, v67
	v_sub_u32_e32 v83, 0, v2
	v_sub_u32_e32 v82, 0, v43
	v_sub_u32_e32 v81, 0, v48
	v_sub_u32_e32 v80, 0, v49
	v_sub_u32_e32 v79, 0, v52
	v_sub_u32_e32 v78, 0, v53
	v_sub_u32_e32 v77, 0, v54
	v_sub_u32_e32 v76, 0, v5
	ds_write_b32 v71, v21
	v_pack_b32_f16 v21, v68, v69
	ds_write_b32 v72, v21
	s_and_saveexec_b64 s[4:5], s[0:1]
	s_cbranch_execz .LBB0_21
; %bb.20:
	s_mov_b32 s6, 0x5040100
	v_perm_b32 v21, v24, v18, s6
	ds_write_b32 v19, v21
.LBB0_21:
	s_or_b64 exec, exec, s[4:5]
	v_add_u32_e32 v13, v13, v83
	s_waitcnt lgkmcnt(0)
	; wave barrier
	s_waitcnt lgkmcnt(0)
	v_add_u32_e32 v14, v14, v82
	v_add_u32_e32 v19, v70, v81
	;; [unrolled: 1-line block ×3, first 2 shown]
	ds_read_u16 v38, v13
	ds_read_u16 v37, v14
	;; [unrolled: 1-line block ×5, first 2 shown]
	ds_read_u16 v70, v7 offset:924
	ds_read_u16 v69, v7 offset:1012
	;; [unrolled: 1-line block ×7, first 2 shown]
	v_add_u32_e32 v15, v15, v79
	v_add_u32_e32 v23, v16, v78
	;; [unrolled: 1-line block ×3, first 2 shown]
	ds_read_u16 v67, v7 offset:1540
	ds_read_u16 v68, v7 offset:1628
	v_add_u32_e32 v16, v72, v76
	ds_read_u16 v51, v15
	ds_read_u16 v50, v23
	;; [unrolled: 1-line block ×5, first 2 shown]
	ds_read_u16 v71, v7 offset:1716
	v_lshlrev_b32_e32 v73, 1, v3
	v_lshlrev_b32_e32 v74, 1, v4
	s_and_saveexec_b64 s[4:5], s[0:1]
	s_cbranch_execz .LBB0_23
; %bb.22:
	ds_read_u16 v18, v7 offset:880
	ds_read_u16 v24, v7 offset:1804
.LBB0_23:
	s_or_b64 exec, exec, s[4:5]
	v_and_b32_e32 v25, 1, v3
	v_lshlrev_b32_e32 v72, 2, v25
	global_load_dword v72, v72, s[8:9]
	s_movk_i32 s7, 0x1fc
	s_movk_i32 s6, 0x3fc
	s_movk_i32 s10, 0x2fc
	s_movk_i32 s4, 0x7c
	v_and_or_b32 v43, v43, s7, v25
	v_and_or_b32 v48, v48, s7, v25
	;; [unrolled: 1-line block ×8, first 2 shown]
	v_lshl_add_u32 v54, v43, 1, 0
	v_lshl_add_u32 v53, v48, 1, 0
	;; [unrolled: 1-line block ×8, first 2 shown]
	s_movk_i32 s5, 0xfc
	v_and_or_b32 v74, v74, s5, v25
	v_and_or_b32 v5, v5, s6, v25
	s_waitcnt lgkmcnt(0)
	; wave barrier
	s_waitcnt lgkmcnt(0)
	v_lshl_add_u32 v74, v74, 1, 0
	s_waitcnt vmcnt(0)
	v_mul_f16_sdwa v77, v65, v72 dst_sel:DWORD dst_unused:UNUSED_PAD src0_sel:DWORD src1_sel:WORD_1
	v_mul_f16_sdwa v78, v64, v72 dst_sel:DWORD dst_unused:UNUSED_PAD src0_sel:DWORD src1_sel:WORD_1
	;; [unrolled: 1-line block ×10, first 2 shown]
	v_fma_f16 v77, v32, v72, v77
	v_fma_f16 v78, v31, v72, v78
	v_mul_f16_sdwa v85, v24, v72 dst_sel:DWORD dst_unused:UNUSED_PAD src0_sel:DWORD src1_sel:WORD_1
	v_fma_f16 v2, v36, v72, v2
	v_fma_f16 v76, v35, v72, v76
	;; [unrolled: 1-line block ×8, first 2 shown]
	v_sub_f16_e32 v77, v44, v77
	v_sub_f16_e32 v78, v45, v78
	v_fma_f16 v85, v17, v72, v85
	v_sub_f16_e32 v86, v55, v2
	v_sub_f16_e32 v76, v66, v76
	;; [unrolled: 1-line block ×8, first 2 shown]
	v_fma_f16 v44, v44, 2.0, -v77
	v_fma_f16 v45, v45, 2.0, -v78
	v_sub_f16_e32 v2, v20, v85
	v_fma_f16 v55, v55, 2.0, -v86
	v_fma_f16 v66, v66, 2.0, -v76
	;; [unrolled: 1-line block ×8, first 2 shown]
	ds_write_b16 v75, v86 offset:4
	ds_write_b16 v75, v55
	ds_write_b16 v74, v66
	ds_write_b16 v74, v76 offset:4
	ds_write_b16 v73, v44
	ds_write_b16 v73, v77 offset:4
	ds_write_b16 v54, v45
	ds_write_b16 v54, v78 offset:4
	ds_write_b16 v53, v46
	ds_write_b16 v53, v79 offset:4
	ds_write_b16 v52, v47
	ds_write_b16 v52, v80 offset:4
	ds_write_b16 v49, v60
	ds_write_b16 v49, v81 offset:4
	ds_write_b16 v48, v61
	ds_write_b16 v48, v82 offset:4
	ds_write_b16 v43, v62
	ds_write_b16 v43, v83 offset:4
	v_lshl_add_u32 v45, v5, 1, 0
	v_lshlrev_b32_e32 v44, 1, v22
	ds_write_b16 v45, v63
	ds_write_b16 v45, v84 offset:4
	s_and_saveexec_b64 s[4:5], s[0:1]
	s_cbranch_execz .LBB0_25
; %bb.24:
	v_fma_f16 v5, v20, 2.0, -v2
	v_and_or_b32 v20, v44, s6, v25
	v_lshl_add_u32 v20, v20, 1, 0
	ds_write_b16 v20, v5
	ds_write_b16 v20, v2 offset:4
.LBB0_25:
	s_or_b64 exec, exec, s[4:5]
	v_mul_f16_sdwa v5, v36, v72 dst_sel:DWORD dst_unused:UNUSED_PAD src0_sel:DWORD src1_sel:WORD_1
	v_mul_f16_sdwa v20, v35, v72 dst_sel:DWORD dst_unused:UNUSED_PAD src0_sel:DWORD src1_sel:WORD_1
	;; [unrolled: 1-line block ×9, first 2 shown]
	v_fma_f16 v5, v70, v72, -v5
	v_fma_f16 v20, v69, v72, -v20
	;; [unrolled: 1-line block ×6, first 2 shown]
	v_mul_f16_sdwa v27, v27, v72 dst_sel:DWORD dst_unused:UNUSED_PAD src0_sel:DWORD src1_sel:WORD_1
	v_fma_f16 v33, v68, v72, -v33
	v_fma_f16 v34, v71, v72, -v34
	v_mul_f16_sdwa v17, v17, v72 dst_sel:DWORD dst_unused:UNUSED_PAD src0_sel:DWORD src1_sel:WORD_1
	v_fma_f16 v27, v57, v72, -v27
	v_fma_f16 v32, v67, v72, -v32
	;; [unrolled: 1-line block ×3, first 2 shown]
	v_sub_f16_e32 v46, v40, v5
	v_sub_f16_e32 v55, v58, v20
	;; [unrolled: 1-line block ×8, first 2 shown]
	v_fma_f16 v47, v40, 2.0, -v46
	v_fma_f16 v56, v58, 2.0, -v55
	;; [unrolled: 1-line block ×6, first 2 shown]
	v_sub_f16_e32 v65, v51, v27
	v_sub_f16_e32 v66, v50, v32
	v_fma_f16 v68, v42, 2.0, -v67
	v_fma_f16 v70, v41, 2.0, -v69
	v_sub_f16_e32 v5, v18, v17
	s_waitcnt lgkmcnt(0)
	; wave barrier
	s_waitcnt lgkmcnt(0)
	ds_read_u16 v26, v13
	ds_read_u16 v24, v14
	;; [unrolled: 1-line block ×5, first 2 shown]
	ds_read_u16 v38, v7 offset:704
	ds_read_u16 v36, v7 offset:792
	;; [unrolled: 1-line block ×10, first 2 shown]
	ds_read_u16 v41, v23
	ds_read_u16 v17, v15
	ds_read_u16 v42, v7 offset:1232
	ds_read_u16 v32, v7 offset:1144
	ds_read_u16 v27, v8
	ds_read_u16 v33, v7 offset:1760
	v_fma_f16 v51, v51, 2.0, -v65
	v_fma_f16 v50, v50, 2.0, -v66
	s_waitcnt lgkmcnt(0)
	; wave barrier
	s_waitcnt lgkmcnt(0)
	ds_write_b16 v75, v47
	ds_write_b16 v75, v46 offset:4
	ds_write_b16 v74, v56
	ds_write_b16 v74, v55 offset:4
	;; [unrolled: 2-line block ×10, first 2 shown]
	s_and_saveexec_b64 s[4:5], s[0:1]
	s_cbranch_execz .LBB0_27
; %bb.26:
	s_movk_i32 s0, 0x3fc
	v_and_or_b32 v25, v44, s0, v25
	v_fma_f16 v18, v18, 2.0, -v5
	v_lshl_add_u32 v25, v25, 1, 0
	ds_write_b16 v25, v18
	ds_write_b16 v25, v5 offset:4
.LBB0_27:
	s_or_b64 exec, exec, s[4:5]
	v_and_b32_e32 v18, 3, v3
	v_lshlrev_b32_e32 v25, 3, v18
	s_waitcnt lgkmcnt(0)
	; wave barrier
	s_waitcnt lgkmcnt(0)
	global_load_dwordx2 v[43:44], v25, s[8:9] offset:8
	ds_read_u16 v25, v13
	ds_read_u16 v45, v14
	ds_read_u16 v19, v19
	ds_read_u16 v21, v21
	ds_read_u16 v46, v7
	ds_read_u16 v47, v7 offset:704
	ds_read_u16 v48, v7 offset:792
	;; [unrolled: 1-line block ×10, first 2 shown]
	ds_read_u16 v23, v23
	ds_read_u16 v57, v15
	ds_read_u16 v58, v7 offset:1232
	ds_read_u16 v59, v7 offset:1144
	ds_read_u16 v60, v8
	ds_read_u16 v61, v7 offset:1760
	s_mov_b32 s0, 0xbaee
	s_movk_i32 s1, 0x3aee
	s_waitcnt lgkmcnt(0)
	; wave barrier
	s_waitcnt lgkmcnt(0)
	v_lshrrev_b32_e32 v9, 2, v9
	v_lshrrev_b32_e32 v10, 2, v10
	;; [unrolled: 1-line block ×4, first 2 shown]
	v_mul_lo_u32 v9, v9, 12
	v_mul_lo_u32 v10, v10, 12
	;; [unrolled: 1-line block ×4, first 2 shown]
	v_or_b32_e32 v9, v9, v18
	v_or_b32_e32 v10, v10, v18
	;; [unrolled: 1-line block ×4, first 2 shown]
	v_lshl_add_u32 v9, v9, 1, 0
	v_lshl_add_u32 v10, v10, 1, 0
	;; [unrolled: 1-line block ×4, first 2 shown]
	s_movk_i32 s7, 0x2b26
	s_mov_b32 s6, 0xbb00
	s_mov_b32 s10, 0xbcab
	s_movk_i32 s11, 0x39e0
	s_mov_b32 s14, 0xb9e0
	s_mov_b32 s15, 0xb574
	s_movk_i32 s17, 0x3574
	s_mov_b32 s16, 0xb70e
	s_waitcnt vmcnt(0)
	v_mul_f16_sdwa v62, v23, v43 dst_sel:DWORD dst_unused:UNUSED_PAD src0_sel:DWORD src1_sel:WORD_1
	v_mul_f16_sdwa v64, v58, v44 dst_sel:DWORD dst_unused:UNUSED_PAD src0_sel:DWORD src1_sel:WORD_1
	;; [unrolled: 1-line block ×16, first 2 shown]
	v_fma_f16 v41, v41, v43, v62
	v_fma_f16 v42, v42, v44, v64
	v_mul_f16_sdwa v66, v47, v43 dst_sel:DWORD dst_unused:UNUSED_PAD src0_sel:DWORD src1_sel:WORD_1
	v_mul_f16_sdwa v67, v38, v43 dst_sel:DWORD dst_unused:UNUSED_PAD src0_sel:DWORD src1_sel:WORD_1
	;; [unrolled: 1-line block ×12, first 2 shown]
	v_fma_f16 v23, v23, v43, -v63
	v_fma_f16 v58, v58, v44, -v65
	v_fma_f16 v40, v40, v44, v68
	v_fma_f16 v52, v52, v44, -v69
	v_fma_f16 v39, v39, v44, v72
	;; [unrolled: 2-line block ×6, first 2 shown]
	v_fma_f16 v44, v61, v44, -v89
	v_add_f16_e32 v61, v41, v42
	v_fma_f16 v38, v38, v43, v66
	v_fma_f16 v47, v47, v43, -v67
	v_fma_f16 v36, v36, v43, v70
	v_fma_f16 v48, v48, v43, -v71
	;; [unrolled: 2-line block ×6, first 2 shown]
	v_add_f16_e32 v59, v28, v41
	v_fma_f16 v28, v61, -0.5, v28
	v_sub_f16_e32 v61, v23, v58
	v_fma_f16 v62, v61, s0, v28
	v_fma_f16 v28, v61, s1, v28
	v_add_f16_e32 v61, v46, v23
	v_add_f16_e32 v23, v23, v58
	v_fma_f16 v23, v23, -0.5, v46
	v_sub_f16_e32 v41, v41, v42
	v_add_f16_e32 v46, v38, v40
	v_add_f16_e32 v59, v59, v42
	v_fma_f16 v42, v41, s1, v23
	v_fma_f16 v23, v41, s0, v23
	v_add_f16_e32 v41, v27, v38
	v_fma_f16 v27, v46, -0.5, v27
	v_sub_f16_e32 v46, v47, v52
	v_add_f16_e32 v61, v61, v58
	v_fma_f16 v58, v46, s0, v27
	v_fma_f16 v27, v46, s1, v27
	v_add_f16_e32 v46, v60, v47
	v_add_f16_e32 v47, v47, v52
	;; [unrolled: 1-line block ×3, first 2 shown]
	v_fma_f16 v47, v47, -0.5, v60
	v_sub_f16_e32 v38, v38, v40
	v_add_f16_e32 v52, v36, v39
	v_add_f16_e32 v41, v41, v40
	v_fma_f16 v40, v38, s1, v47
	v_fma_f16 v38, v38, s0, v47
	v_add_f16_e32 v47, v26, v36
	v_fma_f16 v26, v52, -0.5, v26
	v_sub_f16_e32 v52, v48, v53
	v_fma_f16 v60, v52, s0, v26
	v_fma_f16 v26, v52, s1, v26
	v_add_f16_e32 v52, v25, v48
	v_add_f16_e32 v48, v48, v53
	v_fma_f16 v25, v48, -0.5, v25
	v_sub_f16_e32 v36, v36, v39
	v_add_f16_e32 v48, v34, v37
	v_add_f16_e32 v47, v47, v39
	v_fma_f16 v39, v36, s1, v25
	v_fma_f16 v25, v36, s0, v25
	v_add_f16_e32 v36, v24, v34
	v_fma_f16 v24, v48, -0.5, v24
	v_sub_f16_e32 v48, v49, v54
	v_add_f16_e32 v52, v52, v53
	v_fma_f16 v53, v48, s0, v24
	v_fma_f16 v24, v48, s1, v24
	v_add_f16_e32 v48, v45, v49
	v_add_f16_e32 v49, v49, v54
	v_fma_f16 v45, v49, -0.5, v45
	v_sub_f16_e32 v34, v34, v37
	v_add_f16_e32 v49, v30, v35
	v_add_f16_e32 v36, v36, v37
	v_fma_f16 v37, v34, s1, v45
	v_fma_f16 v34, v34, s0, v45
	v_add_f16_e32 v45, v22, v30
	v_fma_f16 v22, v49, -0.5, v22
	v_sub_f16_e32 v49, v50, v55
	v_add_f16_e32 v48, v48, v54
	;; [unrolled: 14-line block ×4, first 2 shown]
	v_fma_f16 v56, v51, s0, v17
	v_fma_f16 v17, v51, s1, v17
	v_add_f16_e32 v51, v57, v43
	v_add_f16_e32 v43, v43, v44
	;; [unrolled: 1-line block ×3, first 2 shown]
	v_fma_f16 v43, v43, -0.5, v57
	v_sub_f16_e32 v32, v32, v33
	v_lshrrev_b32_e32 v44, 2, v4
	v_add_f16_e32 v29, v29, v33
	v_fma_f16 v33, v32, s1, v43
	v_fma_f16 v32, v32, s0, v43
	v_lshrrev_b32_e32 v43, 2, v3
	v_mul_lo_u32 v44, v44, 12
	v_mul_u32_u24_e32 v43, 12, v43
	v_or_b32_e32 v43, v43, v18
	v_lshl_add_u32 v43, v43, 1, 0
	ds_write_b16 v43, v59
	ds_write_b16 v43, v62 offset:8
	ds_write_b16 v43, v28 offset:16
	v_or_b32_e32 v28, v44, v18
	v_lshrrev_b32_e32 v44, 2, v6
	v_mul_lo_u32 v44, v44, 12
	v_lshl_add_u32 v28, v28, 1, 0
	ds_write_b16 v28, v41
	ds_write_b16 v28, v58 offset:8
	ds_write_b16 v28, v27 offset:16
	s_movk_i32 s0, 0xab
	v_or_b32_e32 v27, v44, v18
	v_lshl_add_u32 v27, v27, 1, 0
	ds_write_b16 v27, v47
	ds_write_b16 v27, v60 offset:8
	ds_write_b16 v27, v26 offset:16
	ds_write_b16 v9, v36
	ds_write_b16 v9, v53 offset:8
	ds_write_b16 v9, v24 offset:16
	;; [unrolled: 3-line block ×5, first 2 shown]
	s_waitcnt lgkmcnt(0)
	; wave barrier
	s_waitcnt lgkmcnt(0)
	ds_read_u16 v17, v15
	ds_read_u16 v20, v16
	;; [unrolled: 1-line block ×4, first 2 shown]
	ds_read_u16 v26, v7 offset:352
	ds_read_u16 v41, v7 offset:1144
	;; [unrolled: 1-line block ×3, first 2 shown]
	ds_read_u16 v44, v14
	ds_read_u16 v69, v13
	ds_read_u16 v45, v7 offset:1056
	ds_read_u16 v70, v7 offset:968
	;; [unrolled: 1-line block ×12, first 2 shown]
	s_waitcnt lgkmcnt(0)
	; wave barrier
	s_waitcnt lgkmcnt(0)
	ds_write_b16 v43, v61
	ds_write_b16 v43, v42 offset:8
	ds_write_b16 v43, v23 offset:16
	ds_write_b16 v28, v46
	ds_write_b16 v28, v40 offset:8
	ds_write_b16 v28, v38 offset:16
	;; [unrolled: 3-line block ×7, first 2 shown]
	v_mul_lo_u16_sdwa v9, v3, s0 dst_sel:DWORD dst_unused:UNUSED_PAD src0_sel:BYTE_0 src1_sel:DWORD
	v_lshrrev_b16_e32 v35, 11, v9
	v_mul_lo_u16_e32 v9, 12, v35
	v_sub_u16_e32 v37, v3, v9
	v_mov_b32_e32 v18, 6
	v_mul_u32_u24_sdwa v9, v37, v18 dst_sel:DWORD dst_unused:UNUSED_PAD src0_sel:BYTE_0 src1_sel:DWORD
	v_lshlrev_b32_e32 v19, 2, v9
	s_waitcnt lgkmcnt(0)
	; wave barrier
	s_waitcnt lgkmcnt(0)
	global_load_dwordx4 v[9:12], v19, s[8:9] offset:40
	global_load_dwordx2 v[31:32], v19, s[8:9] offset:56
	v_mul_lo_u16_sdwa v19, v4, s0 dst_sel:DWORD dst_unused:UNUSED_PAD src0_sel:BYTE_0 src1_sel:DWORD
	v_lshrrev_b16_e32 v38, 11, v19
	v_mul_lo_u16_e32 v19, 12, v38
	v_sub_u16_e32 v39, v4, v19
	v_mul_u32_u24_sdwa v19, v39, v18 dst_sel:DWORD dst_unused:UNUSED_PAD src0_sel:BYTE_0 src1_sel:DWORD
	v_lshlrev_b32_e32 v19, 2, v19
	global_load_dwordx4 v[22:25], v19, s[8:9] offset:40
	global_load_dwordx2 v[33:34], v19, s[8:9] offset:56
	v_mul_lo_u16_sdwa v19, v6, s0 dst_sel:DWORD dst_unused:UNUSED_PAD src0_sel:BYTE_0 src1_sel:DWORD
	v_lshrrev_b16_e32 v77, 11, v19
	v_mul_lo_u16_e32 v19, 12, v77
	v_sub_u16_e32 v78, v6, v19
	v_mul_u32_u24_sdwa v6, v78, v18 dst_sel:DWORD dst_unused:UNUSED_PAD src0_sel:BYTE_0 src1_sel:DWORD
	v_lshlrev_b32_e32 v6, 2, v6
	global_load_dwordx4 v[27:30], v6, s[8:9] offset:40
	ds_read_u16 v40, v15
	ds_read_u16 v42, v16
	ds_read_u16 v18, v8
	ds_read_u16 v19, v7
	ds_read_u16 v43, v7 offset:352
	ds_read_u16 v46, v7 offset:1144
	global_load_dwordx2 v[15:16], v6, s[8:9] offset:56
	ds_read_u16 v6, v7 offset:1408
	ds_read_u16 v14, v14
	ds_read_u16 v21, v13
	ds_read_u16 v13, v7 offset:1056
	ds_read_u16 v49, v7 offset:968
	;; [unrolled: 1-line block ×12, first 2 shown]
	v_mul_u32_u24_e32 v35, 0xa8, v35
	s_waitcnt lgkmcnt(0)
	; wave barrier
	s_waitcnt lgkmcnt(0)
	v_cmp_gt_u32_e64 s[0:1], 40, v3
	s_waitcnt vmcnt(5)
	v_mul_f16_sdwa v53, v14, v9 dst_sel:DWORD dst_unused:UNUSED_PAD src0_sel:DWORD src1_sel:WORD_1
	v_fma_f16 v53, v44, v9, v53
	v_mul_f16_sdwa v44, v44, v9 dst_sel:DWORD dst_unused:UNUSED_PAD src0_sel:DWORD src1_sel:WORD_1
	v_fma_f16 v56, v14, v9, -v44
	v_mul_f16_sdwa v9, v40, v10 dst_sel:DWORD dst_unused:UNUSED_PAD src0_sel:DWORD src1_sel:WORD_1
	v_fma_f16 v55, v17, v10, v9
	v_mul_f16_sdwa v9, v17, v10 dst_sel:DWORD dst_unused:UNUSED_PAD src0_sel:DWORD src1_sel:WORD_1
	v_fma_f16 v59, v40, v10, -v9
	v_mul_f16_sdwa v9, v42, v11 dst_sel:DWORD dst_unused:UNUSED_PAD src0_sel:DWORD src1_sel:WORD_1
	v_fma_f16 v57, v20, v11, v9
	v_mul_f16_sdwa v9, v20, v11 dst_sel:DWORD dst_unused:UNUSED_PAD src0_sel:DWORD src1_sel:WORD_1
	v_fma_f16 v60, v42, v11, -v9
	v_mul_f16_sdwa v9, v13, v12 dst_sel:DWORD dst_unused:UNUSED_PAD src0_sel:DWORD src1_sel:WORD_1
	v_fma_f16 v62, v45, v12, v9
	v_mul_f16_sdwa v9, v45, v12 dst_sel:DWORD dst_unused:UNUSED_PAD src0_sel:DWORD src1_sel:WORD_1
	v_fma_f16 v63, v13, v12, -v9
	s_waitcnt vmcnt(4)
	v_mul_f16_sdwa v9, v52, v31 dst_sel:DWORD dst_unused:UNUSED_PAD src0_sel:DWORD src1_sel:WORD_1
	v_fma_f16 v64, v65, v31, v9
	v_mul_f16_sdwa v9, v65, v31 dst_sel:DWORD dst_unused:UNUSED_PAD src0_sel:DWORD src1_sel:WORD_1
	v_fma_f16 v65, v52, v31, -v9
	v_mul_f16_sdwa v9, v51, v32 dst_sel:DWORD dst_unused:UNUSED_PAD src0_sel:DWORD src1_sel:WORD_1
	v_fma_f16 v66, v67, v32, v9
	v_mul_f16_sdwa v9, v67, v32 dst_sel:DWORD dst_unused:UNUSED_PAD src0_sel:DWORD src1_sel:WORD_1
	v_fma_f16 v67, v51, v32, -v9
	s_waitcnt vmcnt(3)
	v_mul_f16_sdwa v9, v43, v22 dst_sel:DWORD dst_unused:UNUSED_PAD src0_sel:DWORD src1_sel:WORD_1
	v_fma_f16 v20, v26, v22, v9
	v_mul_f16_sdwa v9, v26, v22 dst_sel:DWORD dst_unused:UNUSED_PAD src0_sel:DWORD src1_sel:WORD_1
	v_fma_f16 v44, v43, v22, -v9
	v_mul_f16_sdwa v9, v50, v23 dst_sel:DWORD dst_unused:UNUSED_PAD src0_sel:DWORD src1_sel:WORD_1
	v_fma_f16 v43, v47, v23, v9
	v_mul_f16_sdwa v9, v47, v23 dst_sel:DWORD dst_unused:UNUSED_PAD src0_sel:DWORD src1_sel:WORD_1
	v_fma_f16 v47, v50, v23, -v9
	v_mul_f16_sdwa v9, v48, v24 dst_sel:DWORD dst_unused:UNUSED_PAD src0_sel:DWORD src1_sel:WORD_1
	v_fma_f16 v45, v58, v24, v9
	v_mul_f16_sdwa v9, v58, v24 dst_sel:DWORD dst_unused:UNUSED_PAD src0_sel:DWORD src1_sel:WORD_1
	v_fma_f16 v48, v48, v24, -v9
	v_mul_f16_sdwa v9, v46, v25 dst_sel:DWORD dst_unused:UNUSED_PAD src0_sel:DWORD src1_sel:WORD_1
	v_fma_f16 v50, v41, v25, v9
	v_mul_f16_sdwa v9, v41, v25 dst_sel:DWORD dst_unused:UNUSED_PAD src0_sel:DWORD src1_sel:WORD_1
	v_fma_f16 v51, v46, v25, -v9
	s_waitcnt vmcnt(2)
	v_mul_f16_sdwa v9, v6, v33 dst_sel:DWORD dst_unused:UNUSED_PAD src0_sel:DWORD src1_sel:WORD_1
	v_fma_f16 v52, v54, v33, v9
	v_mul_f16_sdwa v9, v54, v33 dst_sel:DWORD dst_unused:UNUSED_PAD src0_sel:DWORD src1_sel:WORD_1
	v_fma_f16 v54, v6, v33, -v9
	v_mul_f16_sdwa v6, v61, v34 dst_sel:DWORD dst_unused:UNUSED_PAD src0_sel:DWORD src1_sel:WORD_1
	v_fma_f16 v58, v73, v34, v6
	v_mul_f16_sdwa v6, v73, v34 dst_sel:DWORD dst_unused:UNUSED_PAD src0_sel:DWORD src1_sel:WORD_1
	v_fma_f16 v61, v61, v34, -v6
	;; [unrolled: 26-line block ×3, first 2 shown]
	v_add_f16_e32 v6, v53, v66
	v_add_f16_e32 v10, v55, v64
	v_sub_f16_e32 v9, v56, v67
	v_sub_f16_e32 v11, v59, v65
	v_add_f16_e32 v12, v57, v62
	v_sub_f16_e32 v13, v63, v60
	v_add_f16_e32 v14, v10, v6
	v_sub_f16_e32 v15, v10, v6
	v_sub_f16_e32 v6, v6, v12
	;; [unrolled: 1-line block ×3, first 2 shown]
	v_add_f16_e32 v16, v13, v11
	v_sub_f16_e32 v17, v13, v11
	v_sub_f16_e32 v11, v11, v9
	v_add_f16_e32 v12, v12, v14
	v_sub_f16_e32 v13, v9, v13
	v_add_f16_e32 v9, v16, v9
	v_add_f16_e32 v28, v68, v12
	v_mul_f16_e32 v6, 0x3a52, v6
	v_mul_f16_e32 v14, 0x2b26, v10
	;; [unrolled: 1-line block ×4, first 2 shown]
	v_fma_f16 v12, v12, s10, v28
	v_fma_f16 v10, v10, s7, v6
	v_fma_f16 v14, v15, s11, -v14
	v_fma_f16 v6, v15, s14, -v6
	v_fma_f16 v15, v13, s15, v16
	v_fma_f16 v11, v11, s6, -v16
	v_fma_f16 v13, v13, s17, -v17
	v_add_f16_e32 v10, v10, v12
	v_add_f16_e32 v14, v14, v12
	;; [unrolled: 1-line block ×3, first 2 shown]
	v_fma_f16 v12, v9, s16, v15
	v_fma_f16 v11, v9, s16, v11
	;; [unrolled: 1-line block ×3, first 2 shown]
	v_add_f16_e32 v30, v12, v10
	v_add_f16_e32 v31, v9, v6
	v_sub_f16_e32 v34, v6, v9
	v_sub_f16_e32 v70, v10, v12
	v_add_f16_e32 v6, v20, v58
	v_add_f16_e32 v10, v43, v52
	v_sub_f16_e32 v32, v14, v11
	v_add_f16_e32 v33, v11, v14
	v_sub_f16_e32 v9, v44, v61
	v_sub_f16_e32 v11, v47, v54
	v_add_f16_e32 v12, v45, v50
	v_sub_f16_e32 v13, v51, v48
	v_add_f16_e32 v14, v10, v6
	v_sub_f16_e32 v15, v10, v6
	v_sub_f16_e32 v6, v6, v12
	;; [unrolled: 1-line block ×3, first 2 shown]
	v_add_f16_e32 v16, v13, v11
	v_sub_f16_e32 v17, v13, v11
	v_sub_f16_e32 v11, v11, v9
	v_add_f16_e32 v12, v12, v14
	v_sub_f16_e32 v13, v9, v13
	v_add_f16_e32 v9, v16, v9
	v_add_f16_e32 v36, v36, v12
	v_mul_f16_e32 v6, 0x3a52, v6
	v_mul_f16_e32 v14, 0x2b26, v10
	;; [unrolled: 1-line block ×4, first 2 shown]
	v_fma_f16 v12, v12, s10, v36
	v_fma_f16 v10, v10, s7, v6
	v_fma_f16 v14, v15, s11, -v14
	v_fma_f16 v6, v15, s14, -v6
	v_fma_f16 v15, v13, s15, v16
	v_fma_f16 v11, v11, s6, -v16
	v_fma_f16 v13, v13, s17, -v17
	v_add_f16_e32 v10, v10, v12
	v_add_f16_e32 v14, v14, v12
	;; [unrolled: 1-line block ×3, first 2 shown]
	v_fma_f16 v15, v9, s16, v15
	v_fma_f16 v6, v9, s16, v11
	;; [unrolled: 1-line block ×3, first 2 shown]
	v_add_f16_e32 v11, v22, v46
	v_add_f16_e32 v13, v23, v41
	v_add_f16_e32 v71, v15, v10
	v_add_f16_e32 v72, v9, v12
	v_sub_f16_e32 v73, v14, v6
	v_add_f16_e32 v6, v6, v14
	v_sub_f16_e32 v9, v12, v9
	v_sub_f16_e32 v10, v10, v15
	v_sub_f16_e32 v12, v24, v49
	v_sub_f16_e32 v14, v26, v42
	v_add_f16_e32 v15, v25, v29
	v_sub_f16_e32 v16, v40, v27
	v_add_f16_e32 v17, v13, v11
	v_sub_f16_e32 v68, v13, v11
	v_sub_f16_e32 v74, v11, v15
	v_sub_f16_e32 v13, v15, v13
	v_add_f16_e32 v11, v16, v14
	v_sub_f16_e32 v75, v16, v14
	v_sub_f16_e32 v14, v14, v12
	v_add_f16_e32 v15, v15, v17
	v_sub_f16_e32 v16, v12, v16
	v_add_f16_e32 v12, v11, v12
	v_add_f16_e32 v11, v69, v15
	v_mul_f16_e32 v17, 0x3a52, v74
	v_mul_f16_e32 v69, 0x2b26, v13
	;; [unrolled: 1-line block ×4, first 2 shown]
	v_fma_f16 v15, v15, s10, v11
	v_fma_f16 v13, v13, s7, v17
	v_fma_f16 v69, v68, s11, -v69
	v_fma_f16 v17, v68, s14, -v17
	v_fma_f16 v68, v16, s15, v74
	v_fma_f16 v16, v16, s17, -v75
	v_fma_f16 v14, v14, s6, -v74
	v_add_f16_e32 v74, v13, v15
	v_add_f16_e32 v17, v17, v15
	v_fma_f16 v68, v12, s16, v68
	v_fma_f16 v16, v12, s16, v16
	v_add_f16_e32 v69, v69, v15
	v_fma_f16 v15, v12, s16, v14
	v_add_f16_e32 v12, v68, v74
	v_add_f16_e32 v13, v16, v17
	v_sub_f16_e32 v16, v17, v16
	v_sub_f16_e32 v17, v74, v68
	v_mov_b32_e32 v74, 1
	v_lshlrev_b32_sdwa v37, v74, v37 dst_sel:DWORD dst_unused:UNUSED_PAD src0_sel:DWORD src1_sel:BYTE_0
	v_add3_u32 v68, 0, v35, v37
	ds_write_b16 v68, v28
	ds_write_b16 v68, v30 offset:24
	ds_write_b16 v68, v31 offset:48
	;; [unrolled: 1-line block ×6, first 2 shown]
	v_mul_u32_u24_e32 v28, 0xa8, v38
	v_lshlrev_b32_sdwa v30, v74, v39 dst_sel:DWORD dst_unused:UNUSED_PAD src0_sel:DWORD src1_sel:BYTE_0
	v_sub_f16_e32 v14, v69, v15
	v_add_f16_e32 v15, v15, v69
	v_add3_u32 v69, 0, v28, v30
	v_mul_u32_u24_e32 v28, 0xa8, v77
	v_lshlrev_b32_sdwa v30, v74, v78 dst_sel:DWORD dst_unused:UNUSED_PAD src0_sel:DWORD src1_sel:BYTE_0
	v_add3_u32 v70, 0, v28, v30
	ds_write_b16 v69, v36
	ds_write_b16 v69, v71 offset:24
	ds_write_b16 v69, v72 offset:48
	;; [unrolled: 1-line block ×6, first 2 shown]
	ds_write_b16 v70, v11
	ds_write_b16 v70, v12 offset:24
	ds_write_b16 v70, v13 offset:48
	ds_write_b16 v70, v14 offset:72
	ds_write_b16 v70, v15 offset:96
	ds_write_b16 v70, v16 offset:120
	ds_write_b16 v70, v17 offset:144
	s_waitcnt lgkmcnt(0)
	; wave barrier
	s_waitcnt lgkmcnt(0)
	ds_read_u16 v28, v7
	ds_read_u16 v37, v7 offset:168
	ds_read_u16 v35, v7 offset:336
	;; [unrolled: 1-line block ×10, first 2 shown]
	s_and_saveexec_b64 s[4:5], s[0:1]
	s_cbranch_execz .LBB0_29
; %bb.28:
	ds_read_u16 v9, v7 offset:256
	ds_read_u16 v10, v7 offset:424
	;; [unrolled: 1-line block ×9, first 2 shown]
	ds_read_u16 v6, v8
	ds_read_u16 v2, v7 offset:1768
.LBB0_29:
	s_or_b64 exec, exec, s[4:5]
	v_add_f16_e32 v56, v56, v67
	v_add_f16_e32 v59, v59, v65
	v_sub_f16_e32 v53, v53, v66
	v_sub_f16_e32 v55, v55, v64
	v_add_f16_e32 v60, v60, v63
	v_sub_f16_e32 v57, v62, v57
	v_add_f16_e32 v62, v59, v56
	v_sub_f16_e32 v63, v59, v56
	v_sub_f16_e32 v56, v56, v60
	;; [unrolled: 1-line block ×3, first 2 shown]
	v_add_f16_e32 v64, v57, v55
	v_sub_f16_e32 v65, v57, v55
	v_sub_f16_e32 v55, v55, v53
	v_add_f16_e32 v60, v60, v62
	v_sub_f16_e32 v57, v53, v57
	v_add_f16_e32 v53, v64, v53
	v_add_f16_e32 v62, v19, v60
	v_mul_f16_e32 v19, 0x3a52, v56
	v_mul_f16_e32 v56, 0x2b26, v59
	;; [unrolled: 1-line block ×4, first 2 shown]
	v_fma_f16 v60, v60, s10, v62
	v_fma_f16 v59, v59, s7, v19
	v_fma_f16 v56, v63, s11, -v56
	v_fma_f16 v19, v63, s14, -v19
	v_fma_f16 v63, v57, s15, v64
	v_fma_f16 v55, v55, s6, -v64
	v_fma_f16 v57, v57, s17, -v65
	v_add_f16_e32 v59, v59, v60
	v_add_f16_e32 v56, v56, v60
	;; [unrolled: 1-line block ×3, first 2 shown]
	v_fma_f16 v60, v53, s16, v63
	v_fma_f16 v55, v53, s16, v55
	;; [unrolled: 1-line block ×3, first 2 shown]
	v_sub_f16_e32 v63, v19, v53
	v_add_f16_e32 v53, v53, v19
	v_add_f16_e32 v19, v44, v61
	;; [unrolled: 1-line block ×3, first 2 shown]
	v_sub_f16_e32 v20, v20, v58
	v_sub_f16_e32 v43, v43, v52
	v_add_f16_e32 v47, v48, v51
	v_sub_f16_e32 v45, v50, v45
	v_add_f16_e32 v48, v44, v19
	v_add_f16_e32 v24, v24, v49
	v_add_f16_e32 v26, v26, v42
	v_sub_f16_e32 v50, v44, v19
	v_sub_f16_e32 v19, v19, v47
	;; [unrolled: 1-line block ×3, first 2 shown]
	v_add_f16_e32 v51, v45, v43
	v_sub_f16_e32 v52, v45, v43
	v_sub_f16_e32 v43, v43, v20
	v_add_f16_e32 v47, v47, v48
	v_sub_f16_e32 v22, v22, v46
	v_sub_f16_e32 v23, v23, v41
	v_add_f16_e32 v27, v27, v40
	v_sub_f16_e32 v25, v29, v25
	v_add_f16_e32 v29, v26, v24
	;; [unrolled: 2-line block ×3, first 2 shown]
	v_add_f16_e32 v48, v18, v47
	v_mul_f16_e32 v18, 0x3a52, v19
	v_mul_f16_e32 v19, 0x2b26, v44
	;; [unrolled: 1-line block ×4, first 2 shown]
	v_sub_f16_e32 v40, v26, v24
	v_sub_f16_e32 v24, v24, v27
	v_sub_f16_e32 v26, v27, v26
	v_add_f16_e32 v41, v25, v23
	v_sub_f16_e32 v42, v25, v23
	v_sub_f16_e32 v23, v23, v22
	v_add_f16_e32 v27, v27, v29
	v_fma_f16 v47, v47, s10, v48
	v_fma_f16 v44, v44, s7, v18
	v_fma_f16 v19, v50, s11, -v19
	v_fma_f16 v18, v50, s14, -v18
	v_fma_f16 v50, v45, s15, v51
	v_fma_f16 v43, v43, s6, -v51
	v_fma_f16 v45, v45, s17, -v52
	v_sub_f16_e32 v25, v22, v25
	v_add_f16_e32 v22, v41, v22
	v_add_f16_e32 v21, v21, v27
	v_mul_f16_e32 v24, 0x3a52, v24
	v_mul_f16_e32 v29, 0x2b26, v26
	;; [unrolled: 1-line block ×4, first 2 shown]
	v_add_f16_e32 v44, v44, v47
	v_add_f16_e32 v19, v19, v47
	;; [unrolled: 1-line block ×3, first 2 shown]
	v_fma_f16 v50, v20, s16, v50
	v_fma_f16 v18, v20, s16, v43
	;; [unrolled: 1-line block ×5, first 2 shown]
	v_fma_f16 v29, v40, s11, -v29
	v_fma_f16 v24, v40, s14, -v24
	v_fma_f16 v40, v25, s15, v41
	v_fma_f16 v23, v23, s6, -v41
	v_fma_f16 v25, v25, s17, -v42
	v_sub_f16_e32 v43, v44, v50
	v_sub_f16_e32 v45, v47, v20
	v_add_f16_e32 v41, v26, v27
	v_add_f16_e32 v26, v29, v27
	;; [unrolled: 1-line block ×3, first 2 shown]
	v_fma_f16 v29, v22, s16, v40
	v_fma_f16 v40, v22, s16, v23
	;; [unrolled: 1-line block ×3, first 2 shown]
	v_sub_f16_e32 v57, v59, v60
	v_add_f16_e32 v64, v55, v56
	v_sub_f16_e32 v55, v56, v55
	v_add_f16_e32 v56, v60, v59
	v_add_f16_e32 v51, v18, v19
	v_sub_f16_e32 v18, v19, v18
	v_add_f16_e32 v19, v20, v47
	v_add_f16_e32 v20, v50, v44
	v_sub_f16_e32 v22, v41, v29
	v_sub_f16_e32 v23, v27, v42
	v_add_f16_e32 v24, v40, v26
	v_sub_f16_e32 v25, v26, v40
	v_add_f16_e32 v26, v42, v27
	v_add_f16_e32 v27, v29, v41
	s_waitcnt lgkmcnt(0)
	; wave barrier
	s_waitcnt lgkmcnt(0)
	ds_write_b16 v68, v62
	ds_write_b16 v68, v57 offset:24
	ds_write_b16 v68, v63 offset:48
	ds_write_b16 v68, v64 offset:72
	ds_write_b16 v68, v55 offset:96
	ds_write_b16 v68, v53 offset:120
	ds_write_b16 v68, v56 offset:144
	ds_write_b16 v69, v48
	ds_write_b16 v69, v43 offset:24
	ds_write_b16 v69, v45 offset:48
	ds_write_b16 v69, v51 offset:72
	ds_write_b16 v69, v18 offset:96
	ds_write_b16 v69, v19 offset:120
	ds_write_b16 v69, v20 offset:144
	;; [unrolled: 7-line block ×3, first 2 shown]
	s_waitcnt lgkmcnt(0)
	; wave barrier
	s_waitcnt lgkmcnt(0)
	ds_read_u16 v29, v7
	ds_read_u16 v46, v7 offset:168
	ds_read_u16 v45, v7 offset:336
	;; [unrolled: 1-line block ×10, first 2 shown]
	s_and_saveexec_b64 s[4:5], s[0:1]
	s_cbranch_execz .LBB0_31
; %bb.30:
	ds_read_u16 v19, v7 offset:256
	ds_read_u16 v20, v7 offset:424
	;; [unrolled: 1-line block ×9, first 2 shown]
	ds_read_u16 v18, v8
	ds_read_u16 v5, v7 offset:1768
.LBB0_31:
	s_or_b64 exec, exec, s[4:5]
	s_and_saveexec_b64 s[4:5], vcc
	s_cbranch_execz .LBB0_34
; %bb.32:
	v_mul_u32_u24_e32 v7, 10, v3
	v_lshlrev_b32_e32 v58, 2, v7
	global_load_dwordx4 v[50:53], v58, s[8:9] offset:328
	global_load_dwordx2 v[7:8], v58, s[8:9] offset:360
	global_load_dwordx4 v[54:57], v58, s[8:9] offset:344
	s_movk_i32 s10, 0x3abb
	s_movk_i32 s6, 0x36a6
	s_mov_b32 s5, 0xb08e
	s_mov_b32 s15, 0xb93d
	;; [unrolled: 1-line block ×3, first 2 shown]
	v_add_co_u32_e32 v0, vcc, s12, v0
	s_mov_b32 s11, 0xb853
	s_mov_b32 s7, 0xbb47
	s_mov_b32 s4, 0xbbeb
	s_mov_b32 s14, 0xba0c
	s_mov_b32 s16, 0xb482
	s_movk_i32 s21, 0x3482
	s_movk_i32 s18, 0x3beb
	;; [unrolled: 1-line block ×4, first 2 shown]
	s_waitcnt vmcnt(2) lgkmcnt(9)
	v_mul_f16_sdwa v58, v46, v50 dst_sel:DWORD dst_unused:UNUSED_PAD src0_sel:DWORD src1_sel:WORD_1
	s_waitcnt vmcnt(1) lgkmcnt(0)
	v_mul_f16_sdwa v59, v49, v8 dst_sel:DWORD dst_unused:UNUSED_PAD src0_sel:DWORD src1_sel:WORD_1
	v_mul_f16_sdwa v60, v39, v8 dst_sel:DWORD dst_unused:UNUSED_PAD src0_sel:DWORD src1_sel:WORD_1
	;; [unrolled: 1-line block ×7, first 2 shown]
	s_waitcnt vmcnt(0)
	v_mul_f16_sdwa v68, v36, v57 dst_sel:DWORD dst_unused:UNUSED_PAD src0_sel:DWORD src1_sel:WORD_1
	v_fma_f16 v37, v37, v50, v58
	v_fma_f16 v39, v39, v8, v59
	v_mul_f16_sdwa v66, v43, v52 dst_sel:DWORD dst_unused:UNUSED_PAD src0_sel:DWORD src1_sel:WORD_1
	v_mul_f16_sdwa v67, v47, v57 dst_sel:DWORD dst_unused:UNUSED_PAD src0_sel:DWORD src1_sel:WORD_1
	v_fma_f16 v49, v49, v8, -v60
	v_fma_f16 v8, v46, v50, -v61
	v_fma_f16 v35, v35, v51, v62
	v_fma_f16 v38, v38, v7, v63
	v_fma_f16 v46, v48, v7, -v64
	v_fma_f16 v7, v45, v51, -v65
	;; [unrolled: 1-line block ×3, first 2 shown]
	v_sub_f16_e32 v47, v37, v39
	v_mul_f16_sdwa v69, v34, v52 dst_sel:DWORD dst_unused:UNUSED_PAD src0_sel:DWORD src1_sel:WORD_1
	v_mul_f16_sdwa v70, v42, v53 dst_sel:DWORD dst_unused:UNUSED_PAD src0_sel:DWORD src1_sel:WORD_1
	;; [unrolled: 1-line block ×3, first 2 shown]
	v_fma_f16 v34, v34, v52, v66
	v_fma_f16 v36, v36, v57, v67
	v_add_f16_e32 v48, v8, v49
	v_sub_f16_e32 v50, v35, v38
	v_mul_f16_e32 v64, 0xb853, v47
	v_mul_f16_sdwa v72, v33, v56 dst_sel:DWORD dst_unused:UNUSED_PAD src0_sel:DWORD src1_sel:WORD_1
	v_mul_f16_sdwa v73, v32, v53 dst_sel:DWORD dst_unused:UNUSED_PAD src0_sel:DWORD src1_sel:WORD_1
	;; [unrolled: 1-line block ×5, first 2 shown]
	v_fma_f16 v43, v43, v52, -v69
	v_fma_f16 v32, v32, v53, v70
	v_fma_f16 v33, v33, v56, v71
	v_add_f16_e32 v51, v7, v46
	v_sub_f16_e32 v52, v34, v36
	v_mul_f16_e32 v65, 0xbb47, v50
	v_fma_f16 v71, v48, s10, v64
	v_mul_f16_sdwa v76, v31, v55 dst_sel:DWORD dst_unused:UNUSED_PAD src0_sel:DWORD src1_sel:WORD_1
	v_fma_f16 v44, v44, v56, -v72
	v_fma_f16 v42, v42, v53, -v73
	v_fma_f16 v30, v30, v54, v74
	v_fma_f16 v31, v31, v55, v75
	v_fma_f16 v40, v40, v54, -v77
	v_add_f16_e32 v53, v43, v45
	v_sub_f16_e32 v54, v32, v33
	v_sub_f16_e32 v59, v8, v49
	v_mul_f16_e32 v66, 0xbbeb, v52
	v_fma_f16 v72, v51, s6, v65
	v_add_f16_e32 v71, v29, v71
	v_fma_f16 v41, v41, v55, -v76
	v_add_f16_e32 v55, v42, v44
	v_sub_f16_e32 v56, v30, v31
	v_add_f16_e32 v58, v37, v39
	v_sub_f16_e32 v61, v7, v46
	v_mul_f16_e32 v67, 0xba0c, v54
	v_mul_f16_e32 v69, 0xb853, v59
	v_fma_f16 v73, v53, s5, v66
	v_add_f16_e32 v71, v71, v72
	v_add_f16_e32 v57, v40, v41
	;; [unrolled: 1-line block ×3, first 2 shown]
	v_sub_f16_e32 v63, v43, v45
	v_mul_f16_e32 v68, 0xb482, v56
	v_mul_f16_e32 v70, 0xbb47, v61
	v_fma_f16 v74, v55, s15, v67
	v_fma_f16 v76, v58, s10, -v69
	v_add_f16_e32 v71, v71, v73
	v_add_f16_e32 v62, v34, v36
	v_fma_f16 v75, v57, s17, v68
	v_fma_f16 v77, v60, s6, -v70
	v_add_f16_e32 v76, v28, v76
	v_add_f16_e32 v71, v71, v74
	v_mul_f16_e32 v73, 0xbbeb, v63
	v_add_f16_e32 v72, v76, v77
	v_add_f16_e32 v71, v71, v75
	v_fma_f16 v74, v62, s5, -v73
	v_sub_f16_e32 v75, v42, v44
	v_add_f16_e32 v72, v72, v74
	v_add_f16_e32 v74, v32, v33
	v_mul_f16_e32 v76, 0xba0c, v75
	v_fma_f16 v77, v74, s15, -v76
	v_sub_f16_e32 v78, v40, v41
	v_add_f16_e32 v72, v72, v77
	v_add_f16_e32 v77, v30, v31
	v_mul_f16_e32 v79, 0xb482, v78
	v_fma_f16 v80, v77, s17, -v79
	v_add_f16_e32 v72, v72, v80
	v_mul_f16_e32 v80, 0xbb47, v47
	v_fma_f16 v81, v48, s6, v80
	v_mul_f16_e32 v82, 0xba0c, v50
	v_add_f16_e32 v81, v29, v81
	v_fma_f16 v83, v51, s15, v82
	v_add_f16_e32 v81, v81, v83
	v_mul_f16_e32 v83, 0x3482, v52
	v_fma_f16 v84, v53, s17, v83
	v_add_f16_e32 v81, v81, v84
	v_mul_f16_e32 v84, 0x3beb, v54
	v_fma_f16 v85, v55, s5, v84
	v_add_f16_e32 v81, v81, v85
	v_mul_f16_e32 v85, 0x3853, v56
	v_fma_f16 v86, v57, s10, v85
	v_add_f16_e32 v81, v81, v86
	v_mul_f16_e32 v86, 0xbb47, v59
	v_fma_f16 v87, v58, s6, -v86
	v_mul_f16_e32 v88, 0xba0c, v61
	v_add_f16_e32 v87, v28, v87
	v_fma_f16 v89, v60, s15, -v88
	v_add_f16_e32 v87, v87, v89
	v_mul_f16_e32 v89, 0x3482, v63
	v_fma_f16 v90, v62, s17, -v89
	v_add_f16_e32 v87, v87, v90
	v_mul_f16_e32 v90, 0x3beb, v75
	v_fma_f16 v91, v74, s5, -v90
	v_add_f16_e32 v87, v87, v91
	v_mul_f16_e32 v91, 0x3853, v78
	v_fma_f16 v92, v77, s10, -v91
	v_add_f16_e32 v87, v87, v92
	v_mul_f16_e32 v92, 0xbbeb, v47
	v_fma_f16 v93, v48, s5, v92
	v_mul_f16_e32 v94, 0x3482, v50
	v_add_f16_e32 v93, v29, v93
	v_fma_f16 v95, v51, s17, v94
	v_add_f16_e32 v93, v93, v95
	v_mul_f16_e32 v95, 0x3b47, v52
	v_fma_f16 v96, v53, s6, v95
	v_add_f16_e32 v93, v93, v96
	v_mul_f16_e32 v96, 0xb853, v54
	v_fma_f16 v97, v55, s10, v96
	v_add_f16_e32 v93, v93, v97
	v_mul_f16_e32 v97, 0xba0c, v56
	v_fma_f16 v98, v57, s15, v97
	v_add_f16_e32 v93, v93, v98
	v_mul_f16_e32 v98, 0xbbeb, v59
	v_fma_f16 v99, v58, s5, -v98
	v_mul_f16_e32 v100, 0x3482, v61
	v_add_f16_e32 v99, v28, v99
	v_fma_f16 v101, v60, s17, -v100
	v_add_f16_e32 v99, v99, v101
	v_mul_f16_e32 v101, 0x3b47, v63
	v_fma_f16 v102, v62, s6, -v101
	v_add_f16_e32 v99, v99, v102
	v_mul_f16_e32 v102, 0xb853, v75
	v_fma_f16 v103, v74, s10, -v102
	;; [unrolled: 30-line block ×3, first 2 shown]
	v_add_f16_e32 v111, v111, v115
	v_mul_f16_e32 v115, 0x3b47, v78
	v_fma_f16 v116, v77, s6, -v115
	v_mul_f16_e32 v47, 0xb482, v47
	v_add_f16_e32 v111, v111, v116
	v_fma_f16 v116, v48, s17, v47
	v_mul_f16_e32 v50, 0x3853, v50
	v_fma_f16 v47, v48, s17, -v47
	v_fma_f16 v117, v51, s10, v50
	v_mul_f16_e32 v52, 0xba0c, v52
	v_add_f16_e32 v47, v29, v47
	v_fma_f16 v50, v51, s10, -v50
	v_mul_f16_e32 v54, 0x3b47, v54
	v_add_f16_e32 v47, v47, v50
	v_fma_f16 v50, v53, s15, -v52
	;; [unrolled: 3-line block ×4, first 2 shown]
	v_add_f16_e32 v116, v29, v116
	v_mul_f16_e32 v61, 0x3853, v61
	v_add_f16_e32 v47, v47, v50
	v_fma_f16 v50, v58, s17, v59
	v_add_f16_e32 v116, v116, v117
	v_fma_f16 v117, v53, s15, v52
	v_mul_f16_e32 v63, 0xba0c, v63
	v_add_f16_e32 v50, v28, v50
	v_fma_f16 v52, v60, s10, v61
	v_mul_f16_e32 v75, 0x3b47, v75
	;; [unrolled: 3-line block ×3, first 2 shown]
	v_add_f16_e32 v50, v50, v52
	v_fma_f16 v52, v74, s6, v75
	v_add_f16_e32 v50, v50, v52
	v_fma_f16 v52, v77, s5, v78
	v_add_f16_e32 v50, v50, v52
	v_fma_f16 v52, v48, s15, -v104
	v_add_f16_e32 v116, v116, v117
	v_fma_f16 v117, v55, s6, v54
	v_add_f16_e32 v52, v29, v52
	v_fma_f16 v54, v51, s5, -v106
	v_add_f16_e32 v52, v52, v54
	v_fma_f16 v54, v53, s10, -v107
	;; [unrolled: 2-line block ×4, first 2 shown]
	v_add_f16_e32 v52, v52, v54
	v_fma_f16 v54, v58, s15, v110
	v_add_f16_e32 v116, v116, v117
	v_fma_f16 v117, v57, s5, v56
	;; [unrolled: 2-line block ×6, first 2 shown]
	v_add_f16_e32 v54, v54, v56
	v_fma_f16 v56, v48, s5, -v92
	v_add_f16_e32 v116, v116, v117
	v_fma_f16 v117, v58, s17, -v59
	;; [unrolled: 2-line block ×6, first 2 shown]
	v_add_f16_e32 v56, v56, v59
	v_fma_f16 v59, v58, s5, v98
	v_fma_f16 v118, v60, s10, -v61
	v_add_f16_e32 v59, v28, v59
	v_fma_f16 v61, v60, s17, v100
	v_add_f16_e32 v59, v59, v61
	v_fma_f16 v61, v62, s6, v101
	;; [unrolled: 2-line block ×4, first 2 shown]
	v_add_f16_e32 v117, v28, v117
	v_add_f16_e32 v59, v59, v61
	v_fma_f16 v61, v48, s6, -v80
	v_fma_f16 v48, v48, s10, -v64
	v_add_f16_e32 v117, v117, v118
	v_fma_f16 v118, v62, s15, -v63
	v_add_f16_e32 v61, v29, v61
	;; [unrolled: 2-line block ×10, first 2 shown]
	v_fma_f16 v63, v58, s6, v86
	v_add_f16_e32 v48, v48, v51
	v_fma_f16 v51, v58, s10, v69
	v_add_f16_e32 v63, v28, v63
	v_add_f16_e32 v51, v28, v51
	v_add_f16_e32 v28, v28, v37
	v_add_f16_e32 v28, v28, v35
	v_add_f16_e32 v28, v28, v34
	v_add_f16_e32 v28, v28, v32
	v_add_f16_e32 v28, v28, v30
	v_add_f16_e32 v28, v28, v31
	v_add_f16_e32 v28, v33, v28
	v_add_f16_e32 v8, v29, v8
	v_add_f16_e32 v28, v36, v28
	v_add_f16_e32 v7, v8, v7
	v_add_f16_e32 v28, v38, v28
	v_add_f16_e32 v7, v7, v43
	v_add_f16_e32 v30, v39, v28
	v_add_f16_e32 v28, v7, v42
	v_mad_u64_u32 v[7:8], s[22:23], s2, v3, 0
	v_add_f16_e32 v28, v28, v40
	v_add_f16_e32 v28, v28, v41
	;; [unrolled: 1-line block ×3, first 2 shown]
	v_mad_u64_u32 v[28:29], s[22:23], s3, v3, v[8:9]
	v_add_f16_e32 v8, v45, v31
	v_add_f16_e32 v8, v46, v8
	;; [unrolled: 1-line block ×3, first 2 shown]
	v_mov_b32_e32 v8, v28
	v_mov_b32_e32 v28, s13
	v_add_u32_e32 v32, 0x54, v3
	v_addc_co_u32_e32 v1, vcc, v28, v1, vcc
	v_mad_u64_u32 v[28:29], s[12:13], s2, v32, 0
	v_pack_b32_f16 v33, v30, v31
	v_lshlrev_b64 v[7:8], 2, v[7:8]
	v_mad_u64_u32 v[29:30], s[12:13], s3, v32, v[29:30]
	v_add_u32_e32 v32, 0xa8, v3
	v_mad_u64_u32 v[30:31], s[12:13], s2, v32, 0
	v_add_co_u32_e32 v7, vcc, v0, v7
	v_addc_co_u32_e32 v8, vcc, v1, v8, vcc
	v_fma_f16 v53, v60, s6, v70
	global_store_dword v[7:8], v33, off
	v_lshlrev_b64 v[7:8], 2, v[28:29]
	v_mov_b32_e32 v28, v31
	v_add_f16_e32 v51, v51, v53
	v_fma_f16 v53, v62, s5, v73
	v_mad_u64_u32 v[28:29], s[12:13], s3, v32, v[28:29]
	v_add_f16_e32 v51, v51, v53
	v_fma_f16 v53, v74, s15, v76
	v_add_f16_e32 v51, v51, v53
	v_fma_f16 v53, v77, s17, v79
	v_add_f16_e32 v51, v51, v53
	v_add_co_u32_e32 v7, vcc, v0, v7
	v_addc_co_u32_e32 v8, vcc, v1, v8, vcc
	v_pack_b32_f16 v29, v51, v48
	v_mov_b32_e32 v31, v28
	global_store_dword v[7:8], v29, off
	v_lshlrev_b64 v[7:8], 2, v[30:31]
	v_add_u32_e32 v30, 0xfc, v3
	v_mad_u64_u32 v[28:29], s[12:13], s2, v30, 0
	v_add_f16_e32 v117, v117, v118
	v_fma_f16 v118, v74, s6, -v75
	v_fma_f16 v75, v60, s15, v88
	v_add_f16_e32 v63, v63, v75
	v_fma_f16 v75, v62, s17, v89
	v_mad_u64_u32 v[29:30], s[12:13], s3, v30, v[29:30]
	v_add_u32_e32 v33, 0x150, v3
	v_add_f16_e32 v63, v63, v75
	v_fma_f16 v75, v74, s5, v90
	v_mad_u64_u32 v[30:31], s[12:13], s2, v33, 0
	v_add_f16_e32 v63, v63, v75
	v_fma_f16 v75, v77, s10, v91
	v_add_f16_e32 v63, v63, v75
	v_add_co_u32_e32 v7, vcc, v0, v7
	v_addc_co_u32_e32 v8, vcc, v1, v8, vcc
	v_pack_b32_f16 v32, v63, v61
	global_store_dword v[7:8], v32, off
	v_lshlrev_b64 v[7:8], 2, v[28:29]
	v_mov_b32_e32 v28, v31
	v_mad_u64_u32 v[28:29], s[12:13], s3, v33, v[28:29]
	v_add_co_u32_e32 v7, vcc, v0, v7
	v_addc_co_u32_e32 v8, vcc, v1, v8, vcc
	v_pack_b32_f16 v29, v59, v56
	v_mov_b32_e32 v31, v28
	global_store_dword v[7:8], v29, off
	v_lshlrev_b64 v[7:8], 2, v[30:31]
	v_add_u32_e32 v30, 0x1a4, v3
	v_mad_u64_u32 v[28:29], s[12:13], s2, v30, 0
	v_add_u32_e32 v33, 0x1f8, v3
	v_add_co_u32_e32 v7, vcc, v0, v7
	v_mad_u64_u32 v[29:30], s[12:13], s3, v30, v[29:30]
	v_mad_u64_u32 v[30:31], s[12:13], s2, v33, 0
	v_addc_co_u32_e32 v8, vcc, v1, v8, vcc
	v_pack_b32_f16 v32, v54, v52
	global_store_dword v[7:8], v32, off
	v_lshlrev_b64 v[7:8], 2, v[28:29]
	v_mov_b32_e32 v28, v31
	v_mad_u64_u32 v[28:29], s[12:13], s3, v33, v[28:29]
	v_add_co_u32_e32 v7, vcc, v0, v7
	v_addc_co_u32_e32 v8, vcc, v1, v8, vcc
	v_pack_b32_f16 v29, v50, v47
	v_mov_b32_e32 v31, v28
	global_store_dword v[7:8], v29, off
	v_lshlrev_b64 v[7:8], 2, v[30:31]
	v_add_u32_e32 v30, 0x24c, v3
	v_mad_u64_u32 v[28:29], s[12:13], s2, v30, 0
	v_add_u32_e32 v33, 0x2a0, v3
	v_add_f16_e32 v117, v117, v118
	v_mad_u64_u32 v[29:30], s[12:13], s3, v30, v[29:30]
	v_mad_u64_u32 v[30:31], s[12:13], s2, v33, 0
	v_fma_f16 v118, v77, s5, -v78
	v_add_f16_e32 v117, v117, v118
	v_add_co_u32_e32 v7, vcc, v0, v7
	v_addc_co_u32_e32 v8, vcc, v1, v8, vcc
	v_pack_b32_f16 v32, v117, v116
	global_store_dword v[7:8], v32, off
	v_lshlrev_b64 v[7:8], 2, v[28:29]
	v_mov_b32_e32 v28, v31
	v_mad_u64_u32 v[28:29], s[12:13], s3, v33, v[28:29]
	v_add_co_u32_e32 v7, vcc, v0, v7
	v_addc_co_u32_e32 v8, vcc, v1, v8, vcc
	v_pack_b32_f16 v29, v111, v105
	v_mov_b32_e32 v31, v28
	global_store_dword v[7:8], v29, off
	v_lshlrev_b64 v[7:8], 2, v[30:31]
	v_add_u32_e32 v30, 0x2f4, v3
	v_mad_u64_u32 v[28:29], s[12:13], s2, v30, 0
	v_add_u32_e32 v33, 0x348, v3
	v_add_co_u32_e32 v7, vcc, v0, v7
	v_mad_u64_u32 v[29:30], s[12:13], s3, v30, v[29:30]
	v_mad_u64_u32 v[30:31], s[12:13], s2, v33, 0
	v_addc_co_u32_e32 v8, vcc, v1, v8, vcc
	v_pack_b32_f16 v32, v99, v93
	global_store_dword v[7:8], v32, off
	v_lshlrev_b64 v[7:8], 2, v[28:29]
	v_mov_b32_e32 v28, v31
	v_mad_u64_u32 v[28:29], s[12:13], s3, v33, v[28:29]
	v_add_co_u32_e32 v7, vcc, v0, v7
	v_addc_co_u32_e32 v8, vcc, v1, v8, vcc
	v_pack_b32_f16 v29, v87, v81
	v_mov_b32_e32 v31, v28
	global_store_dword v[7:8], v29, off
	v_lshlrev_b64 v[7:8], 2, v[30:31]
	v_pack_b32_f16 v28, v72, v71
	v_add_co_u32_e32 v7, vcc, v0, v7
	v_addc_co_u32_e32 v8, vcc, v1, v8, vcc
	global_store_dword v[7:8], v28, off
	s_and_b64 exec, exec, s[0:1]
	s_cbranch_execz .LBB0_34
; %bb.33:
	v_subrev_u32_e32 v7, 40, v3
	v_cndmask_b32_e64 v4, v7, v4, s[0:1]
	v_mul_i32_i24_e32 v7, 10, v4
	v_mov_b32_e32 v8, 0
	v_lshlrev_b64 v[7:8], 2, v[7:8]
	v_mov_b32_e32 v4, s9
	v_add_co_u32_e32 v7, vcc, s8, v7
	v_addc_co_u32_e32 v8, vcc, v4, v8, vcc
	global_load_dwordx4 v[28:31], v[7:8], off offset:328
	global_load_dwordx4 v[32:35], v[7:8], off offset:344
	global_load_dwordx2 v[36:37], v[7:8], off offset:360
	s_movk_i32 s0, 0x3a0c
	s_waitcnt vmcnt(2)
	v_mul_f16_sdwa v7, v9, v28 dst_sel:DWORD dst_unused:UNUSED_PAD src0_sel:DWORD src1_sel:WORD_1
	v_mul_f16_sdwa v4, v19, v28 dst_sel:DWORD dst_unused:UNUSED_PAD src0_sel:DWORD src1_sel:WORD_1
	;; [unrolled: 1-line block ×3, first 2 shown]
	s_waitcnt vmcnt(1)
	v_mul_f16_sdwa v44, v13, v32 dst_sel:DWORD dst_unused:UNUSED_PAD src0_sel:DWORD src1_sel:WORD_1
	v_mul_f16_sdwa v50, v16, v35 dst_sel:DWORD dst_unused:UNUSED_PAD src0_sel:DWORD src1_sel:WORD_1
	v_fma_f16 v7, v19, v28, -v7
	v_mul_f16_sdwa v8, v20, v29 dst_sel:DWORD dst_unused:UNUSED_PAD src0_sel:DWORD src1_sel:WORD_1
	v_mul_f16_sdwa v39, v21, v30 dst_sel:DWORD dst_unused:UNUSED_PAD src0_sel:DWORD src1_sel:WORD_1
	;; [unrolled: 1-line block ×5, first 2 shown]
	v_fma_f16 v4, v9, v28, v4
	v_fma_f16 v9, v20, v29, -v38
	v_fma_f16 v20, v23, v32, -v44
	;; [unrolled: 1-line block ×3, first 2 shown]
	v_add_f16_e32 v26, v18, v7
	v_mul_f16_sdwa v42, v12, v31 dst_sel:DWORD dst_unused:UNUSED_PAD src0_sel:DWORD src1_sel:WORD_1
	v_mul_f16_sdwa v48, v15, v34 dst_sel:DWORD dst_unused:UNUSED_PAD src0_sel:DWORD src1_sel:WORD_1
	v_fma_f16 v8, v10, v29, v8
	v_fma_f16 v10, v11, v30, v39
	v_fma_f16 v11, v21, v30, -v40
	v_add_f16_e32 v26, v26, v9
	v_mul_f16_sdwa v41, v22, v31 dst_sel:DWORD dst_unused:UNUSED_PAD src0_sel:DWORD src1_sel:WORD_1
	v_mul_f16_sdwa v47, v25, v34 dst_sel:DWORD dst_unused:UNUSED_PAD src0_sel:DWORD src1_sel:WORD_1
	v_fma_f16 v19, v22, v31, -v42
	v_fma_f16 v22, v25, v34, -v48
	v_add_f16_e32 v25, v6, v4
	v_add_f16_e32 v26, v26, v11
	v_mul_f16_sdwa v46, v14, v33 dst_sel:DWORD dst_unused:UNUSED_PAD src0_sel:DWORD src1_sel:WORD_1
	v_add_f16_e32 v25, v25, v8
	v_add_f16_e32 v26, v26, v19
	v_fma_f16 v12, v12, v31, v41
	v_fma_f16 v21, v24, v33, -v46
	v_add_f16_e32 v25, v25, v10
	v_add_f16_e32 v26, v26, v20
	v_mul_f16_sdwa v45, v24, v33 dst_sel:DWORD dst_unused:UNUSED_PAD src0_sel:DWORD src1_sel:WORD_1
	v_fma_f16 v13, v13, v32, v43
	v_add_f16_e32 v25, v25, v12
	v_add_f16_e32 v26, v26, v21
	s_waitcnt vmcnt(0)
	v_mul_f16_sdwa v52, v17, v36 dst_sel:DWORD dst_unused:UNUSED_PAD src0_sel:DWORD src1_sel:WORD_1
	v_mul_f16_sdwa v54, v2, v37 dst_sel:DWORD dst_unused:UNUSED_PAD src0_sel:DWORD src1_sel:WORD_1
	v_fma_f16 v14, v14, v33, v45
	v_add_f16_e32 v25, v25, v13
	v_add_f16_e32 v26, v26, v22
	v_mul_f16_sdwa v53, v5, v37 dst_sel:DWORD dst_unused:UNUSED_PAD src0_sel:DWORD src1_sel:WORD_1
	v_fma_f16 v15, v15, v34, v47
	v_fma_f16 v24, v27, v36, -v52
	v_fma_f16 v5, v5, v37, -v54
	v_add_f16_e32 v25, v25, v14
	v_add_f16_e32 v26, v26, v23
	v_mul_f16_sdwa v51, v27, v36 dst_sel:DWORD dst_unused:UNUSED_PAD src0_sel:DWORD src1_sel:WORD_1
	v_fma_f16 v16, v16, v35, v49
	v_fma_f16 v2, v2, v37, v53
	v_add_f16_e32 v28, v7, v5
	v_add_f16_e32 v25, v25, v15
	;; [unrolled: 1-line block ×3, first 2 shown]
	v_fma_f16 v17, v17, v36, v51
	v_add_f16_e32 v27, v4, v2
	v_sub_f16_e32 v4, v4, v2
	v_sub_f16_e32 v7, v7, v5
	v_mul_f16_e32 v30, 0x3abb, v28
	v_mul_f16_e32 v32, 0x36a6, v28
	v_add_f16_e32 v25, v25, v16
	v_add_f16_e32 v26, v26, v5
	v_mul_f16_e32 v5, 0xb08e, v28
	v_mul_f16_e32 v41, 0xb93d, v28
	;; [unrolled: 1-line block ×6, first 2 shown]
	v_fma_f16 v35, v4, s19, v30
	v_fma_f16 v30, v4, s11, v30
	;; [unrolled: 1-line block ×4, first 2 shown]
	v_add_f16_e32 v25, v25, v17
	v_fma_f16 v38, v4, s18, v5
	v_fma_f16 v5, v4, s4, v5
	v_mul_f16_e32 v39, 0xba0c, v7
	v_fma_f16 v42, v4, s0, v41
	v_fma_f16 v41, v4, s14, v41
	v_mul_f16_e32 v7, 0xb482, v7
	v_fma_f16 v44, v4, s21, v28
	v_fma_f16 v4, v4, s16, v28
	;; [unrolled: 1-line block ×3, first 2 shown]
	v_fma_f16 v29, v27, s10, -v29
	v_fma_f16 v36, v27, s6, v31
	v_fma_f16 v31, v27, s6, -v31
	v_add_f16_e32 v35, v18, v35
	v_add_f16_e32 v30, v18, v30
	;; [unrolled: 1-line block ×5, first 2 shown]
	v_fma_f16 v2, v27, s5, v33
	v_add_f16_e32 v38, v18, v38
	v_fma_f16 v33, v27, s5, -v33
	v_add_f16_e32 v5, v18, v5
	v_fma_f16 v40, v27, s15, v39
	v_add_f16_e32 v42, v18, v42
	v_fma_f16 v39, v27, s15, -v39
	v_add_f16_e32 v41, v18, v41
	;; [unrolled: 4-line block ×3, first 2 shown]
	v_add_f16_e32 v18, v9, v24
	v_sub_f16_e32 v9, v9, v24
	v_add_f16_e32 v34, v6, v34
	v_add_f16_e32 v29, v6, v29
	;; [unrolled: 1-line block ×11, first 2 shown]
	v_sub_f16_e32 v8, v8, v17
	v_mul_f16_e32 v17, 0xbb47, v9
	v_fma_f16 v24, v7, s6, v17
	v_mul_f16_e32 v27, 0x36a6, v18
	v_fma_f16 v17, v7, s6, -v17
	v_fma_f16 v28, v8, s20, v27
	v_add_f16_e32 v17, v17, v29
	v_fma_f16 v27, v8, s7, v27
	v_mul_f16_e32 v29, 0xba0c, v9
	v_add_f16_e32 v24, v24, v34
	v_add_f16_e32 v27, v27, v30
	v_fma_f16 v30, v7, s15, v29
	v_mul_f16_e32 v34, 0xb93d, v18
	v_fma_f16 v29, v7, s15, -v29
	v_add_f16_e32 v29, v29, v31
	v_fma_f16 v31, v8, s14, v34
	v_add_f16_e32 v31, v31, v32
	v_mul_f16_e32 v32, 0x3482, v9
	v_add_f16_e32 v28, v28, v35
	v_fma_f16 v35, v8, s0, v34
	v_fma_f16 v34, v7, s17, v32
	v_add_f16_e32 v2, v34, v2
	v_mul_f16_e32 v34, 0xbbad, v18
	v_fma_f16 v32, v7, s17, -v32
	v_add_f16_e32 v32, v32, v33
	v_fma_f16 v33, v8, s21, v34
	v_add_f16_e32 v5, v33, v5
	v_mul_f16_e32 v33, 0x3beb, v9
	v_add_f16_e32 v30, v30, v36
	v_fma_f16 v36, v8, s16, v34
	v_fma_f16 v34, v7, s5, v33
	v_fma_f16 v33, v7, s5, -v33
	v_mul_f16_e32 v9, 0x3853, v9
	v_add_f16_e32 v35, v35, v37
	v_mul_f16_e32 v37, 0xb08e, v18
	v_add_f16_e32 v33, v33, v39
	v_fma_f16 v39, v7, s10, v9
	v_mul_f16_e32 v18, 0x3abb, v18
	v_fma_f16 v7, v7, s10, -v9
	v_add_f16_e32 v6, v7, v6
	v_fma_f16 v7, v8, s19, v18
	v_add_f16_e32 v4, v7, v4
	v_add_f16_e32 v7, v10, v16
	v_sub_f16_e32 v9, v10, v16
	v_sub_f16_e32 v10, v11, v23
	v_add_f16_e32 v36, v36, v38
	v_add_f16_e32 v34, v34, v40
	v_fma_f16 v38, v8, s4, v37
	v_fma_f16 v37, v8, s18, v37
	;; [unrolled: 1-line block ×3, first 2 shown]
	v_add_f16_e32 v8, v11, v23
	v_mul_f16_e32 v11, 0xbbeb, v10
	v_fma_f16 v16, v7, s5, v11
	v_mul_f16_e32 v18, 0xb08e, v8
	v_fma_f16 v11, v7, s5, -v11
	v_fma_f16 v23, v9, s18, v18
	v_add_f16_e32 v11, v11, v17
	v_fma_f16 v17, v9, s4, v18
	v_mul_f16_e32 v18, 0x3482, v10
	v_add_f16_e32 v16, v16, v24
	v_fma_f16 v24, v7, s17, v18
	v_fma_f16 v18, v7, s17, -v18
	v_add_f16_e32 v18, v18, v29
	v_mul_f16_e32 v29, 0x3b47, v10
	v_add_f16_e32 v17, v17, v27
	v_add_f16_e32 v24, v24, v30
	v_mul_f16_e32 v27, 0xbbad, v8
	v_fma_f16 v30, v7, s6, v29
	v_add_f16_e32 v23, v23, v28
	v_fma_f16 v28, v9, s16, v27
	v_fma_f16 v27, v9, s21, v27
	v_add_f16_e32 v2, v30, v2
	v_mul_f16_e32 v30, 0x36a6, v8
	v_add_f16_e32 v27, v27, v31
	v_fma_f16 v31, v9, s7, v30
	v_fma_f16 v30, v9, s20, v30
	v_fma_f16 v29, v7, s6, -v29
	v_add_f16_e32 v5, v30, v5
	v_mul_f16_e32 v30, 0xb853, v10
	v_add_f16_e32 v29, v29, v32
	v_fma_f16 v32, v7, s10, v30
	v_add_f16_e32 v32, v32, v34
	v_mul_f16_e32 v34, 0x3abb, v8
	v_fma_f16 v30, v7, s10, -v30
	v_mul_f16_e32 v10, 0xba0c, v10
	v_add_f16_e32 v28, v28, v35
	v_fma_f16 v35, v9, s19, v34
	v_add_f16_e32 v30, v30, v33
	v_fma_f16 v33, v9, s11, v34
	v_fma_f16 v34, v7, s15, v10
	v_mul_f16_e32 v8, 0xb93d, v8
	v_fma_f16 v7, v7, s15, -v10
	v_add_f16_e32 v6, v7, v6
	v_fma_f16 v7, v9, s14, v8
	v_sub_f16_e32 v10, v19, v22
	v_add_f16_e32 v31, v31, v36
	v_fma_f16 v36, v9, s0, v8
	v_add_f16_e32 v4, v7, v4
	v_add_f16_e32 v7, v12, v15
	v_sub_f16_e32 v9, v12, v15
	v_mul_f16_e32 v12, 0xba0c, v10
	v_add_f16_e32 v8, v19, v22
	v_fma_f16 v15, v7, s15, v12
	v_add_f16_e32 v15, v15, v16
	v_mul_f16_e32 v16, 0xb93d, v8
	v_fma_f16 v12, v7, s15, -v12
	v_fma_f16 v19, v9, s0, v16
	v_add_f16_e32 v11, v12, v11
	v_fma_f16 v12, v9, s14, v16
	v_mul_f16_e32 v16, 0x3beb, v10
	v_add_f16_e32 v12, v12, v17
	v_fma_f16 v17, v7, s5, v16
	v_mul_f16_e32 v22, 0xb08e, v8
	v_fma_f16 v16, v7, s5, -v16
	v_add_f16_e32 v19, v19, v23
	v_fma_f16 v23, v9, s4, v22
	v_add_f16_e32 v16, v16, v18
	v_fma_f16 v18, v9, s18, v22
	v_mul_f16_e32 v22, 0xb853, v10
	v_add_f16_e32 v17, v17, v24
	v_fma_f16 v24, v7, s10, v22
	v_add_f16_e32 v2, v24, v2
	v_mul_f16_e32 v24, 0x3abb, v8
	v_add_f16_e32 v18, v18, v27
	v_fma_f16 v27, v9, s19, v24
	v_fma_f16 v24, v9, s11, v24
	v_add_f16_e32 v5, v24, v5
	v_mul_f16_e32 v24, 0xb482, v10
	v_add_f16_e32 v23, v23, v28
	v_fma_f16 v22, v7, s10, -v22
	v_fma_f16 v28, v7, s17, v24
	v_fma_f16 v24, v7, s17, -v24
	v_mul_f16_e32 v10, 0x3b47, v10
	v_add_f16_e32 v22, v22, v29
	v_mul_f16_e32 v29, 0xbbad, v8
	v_add_f16_e32 v24, v24, v30
	v_fma_f16 v30, v7, s6, v10
	v_mul_f16_e32 v8, 0x36a6, v8
	v_fma_f16 v7, v7, s6, -v10
	v_add_f16_e32 v7, v7, v6
	v_fma_f16 v6, v9, s20, v8
	v_sub_f16_e32 v10, v20, v21
	v_add_f16_e32 v27, v27, v31
	v_add_f16_e32 v28, v28, v32
	v_fma_f16 v31, v9, s21, v29
	v_fma_f16 v29, v9, s16, v29
	;; [unrolled: 1-line block ×3, first 2 shown]
	v_add_f16_e32 v8, v6, v4
	v_add_f16_e32 v6, v13, v14
	v_sub_f16_e32 v9, v13, v14
	v_mul_f16_e32 v13, 0xb482, v10
	v_add_f16_e32 v4, v20, v21
	v_fma_f16 v14, v6, s17, v13
	v_add_f16_e32 v14, v14, v15
	v_mul_f16_e32 v15, 0xbbad, v4
	v_fma_f16 v13, v6, s17, -v13
	v_add_f16_e32 v11, v13, v11
	v_fma_f16 v13, v9, s16, v15
	v_add_f16_e32 v12, v13, v12
	v_mul_f16_e32 v13, 0x3853, v10
	v_fma_f16 v20, v9, s21, v15
	v_fma_f16 v15, v6, s10, v13
	v_add_f16_e32 v15, v15, v17
	v_mul_f16_e32 v17, 0x3abb, v4
	v_fma_f16 v13, v6, s10, -v13
	v_add_f16_e32 v19, v20, v19
	v_fma_f16 v20, v9, s11, v17
	v_add_f16_e32 v13, v13, v16
	v_fma_f16 v16, v9, s19, v17
	v_mul_f16_e32 v17, 0xba0c, v10
	v_add_f16_e32 v16, v16, v18
	v_fma_f16 v18, v6, s15, v17
	v_add_f16_e32 v18, v18, v2
	v_mul_f16_e32 v2, 0xb93d, v4
	v_fma_f16 v21, v9, s0, v2
	v_fma_f16 v17, v6, s15, -v17
	v_fma_f16 v2, v9, s14, v2
	v_add_f16_e32 v17, v17, v22
	v_add_f16_e32 v22, v2, v5
	v_mul_f16_e32 v2, 0x3b47, v10
	v_add_f16_e32 v37, v37, v41
	v_fma_f16 v5, v6, s6, v2
	v_add_f16_e32 v33, v33, v37
	v_add_f16_e32 v20, v20, v23
	;; [unrolled: 1-line block ×3, first 2 shown]
	v_mul_f16_e32 v5, 0x36a6, v4
	v_fma_f16 v2, v6, s6, -v2
	v_add_f16_e32 v39, v39, v43
	v_add_f16_e32 v29, v29, v33
	;; [unrolled: 1-line block ×3, first 2 shown]
	v_fma_f16 v2, v9, s20, v5
	v_add_f16_e32 v34, v34, v39
	v_add_f16_e32 v28, v2, v29
	v_mul_f16_e32 v2, 0xbbeb, v10
	v_add_f16_e32 v30, v30, v34
	v_add_f16_e32 v21, v21, v27
	v_fma_f16 v27, v9, s7, v5
	v_fma_f16 v5, v6, s5, v2
	v_add_f16_e32 v10, v5, v30
	v_add_u32_e32 v30, 44, v3
	v_add_f16_e32 v38, v38, v42
	v_mul_f16_e32 v29, 0xb08e, v4
	v_mad_u64_u32 v[4:5], s[0:1], s2, v30, 0
	v_add_f16_e32 v40, v40, v44
	v_add_f16_e32 v35, v35, v38
	;; [unrolled: 1-line block ×6, first 2 shown]
	v_fma_f16 v31, v9, s18, v29
	v_add_f16_e32 v31, v31, v32
	v_fma_f16 v32, v6, s5, -v2
	v_mov_b32_e32 v2, v5
	v_mad_u64_u32 v[5:6], s[0:1], s3, v30, v[2:3]
	v_fma_f16 v2, v9, s4, v29
	v_add_f16_e32 v29, v2, v8
	v_or_b32_e32 v8, 0x80, v3
	v_add_f16_e32 v30, v32, v7
	v_mad_u64_u32 v[6:7], s[0:1], s2, v8, 0
	v_pack_b32_f16 v25, v25, v26
	v_add_u32_e32 v26, 0xd4, v3
	v_mov_b32_e32 v2, v7
	v_mad_u64_u32 v[7:8], s[0:1], s3, v8, v[2:3]
	v_mad_u64_u32 v[8:9], s[0:1], s2, v26, 0
	v_lshlrev_b64 v[4:5], 2, v[4:5]
	v_add_co_u32_e32 v4, vcc, v0, v4
	v_addc_co_u32_e32 v5, vcc, v1, v5, vcc
	v_mov_b32_e32 v2, v9
	global_store_dword v[4:5], v25, off
	v_lshlrev_b64 v[4:5], 2, v[6:7]
	v_mad_u64_u32 v[6:7], s[0:1], s3, v26, v[2:3]
	v_add_co_u32_e32 v4, vcc, v0, v4
	v_addc_co_u32_e32 v5, vcc, v1, v5, vcc
	v_pack_b32_f16 v2, v14, v19
	v_mov_b32_e32 v9, v6
	global_store_dword v[4:5], v2, off
	v_lshlrev_b64 v[4:5], 2, v[8:9]
	v_add_u32_e32 v8, 0x128, v3
	v_mad_u64_u32 v[6:7], s[0:1], s2, v8, 0
	v_pack_b32_f16 v14, v15, v20
	v_add_u32_e32 v15, 0x17c, v3
	v_mov_b32_e32 v2, v7
	v_mad_u64_u32 v[7:8], s[0:1], s3, v8, v[2:3]
	v_mad_u64_u32 v[8:9], s[0:1], s2, v15, 0
	v_add_co_u32_e32 v4, vcc, v0, v4
	v_addc_co_u32_e32 v5, vcc, v1, v5, vcc
	v_mov_b32_e32 v2, v9
	global_store_dword v[4:5], v14, off
	v_lshlrev_b64 v[4:5], 2, v[6:7]
	v_mad_u64_u32 v[6:7], s[0:1], s3, v15, v[2:3]
	v_add_co_u32_e32 v4, vcc, v0, v4
	v_addc_co_u32_e32 v5, vcc, v1, v5, vcc
	v_pack_b32_f16 v2, v18, v21
	v_mov_b32_e32 v9, v6
	global_store_dword v[4:5], v2, off
	v_lshlrev_b64 v[4:5], 2, v[8:9]
	v_add_u32_e32 v8, 0x1d0, v3
	v_mad_u64_u32 v[6:7], s[0:1], s2, v8, 0
	v_add_u32_e32 v15, 0x224, v3
	v_add_co_u32_e32 v4, vcc, v0, v4
	v_mov_b32_e32 v2, v7
	v_mad_u64_u32 v[7:8], s[0:1], s3, v8, v[2:3]
	v_mad_u64_u32 v[8:9], s[0:1], s2, v15, 0
	v_addc_co_u32_e32 v5, vcc, v1, v5, vcc
	v_pack_b32_f16 v14, v23, v27
	v_mov_b32_e32 v2, v9
	global_store_dword v[4:5], v14, off
	v_lshlrev_b64 v[4:5], 2, v[6:7]
	v_mad_u64_u32 v[6:7], s[0:1], s3, v15, v[2:3]
	v_add_co_u32_e32 v4, vcc, v0, v4
	v_addc_co_u32_e32 v5, vcc, v1, v5, vcc
	v_pack_b32_f16 v2, v10, v31
	v_mov_b32_e32 v9, v6
	global_store_dword v[4:5], v2, off
	v_lshlrev_b64 v[4:5], 2, v[8:9]
	v_add_u32_e32 v8, 0x278, v3
	v_mad_u64_u32 v[6:7], s[0:1], s2, v8, 0
	v_add_u32_e32 v14, 0x2cc, v3
	v_add_co_u32_e32 v4, vcc, v0, v4
	v_mov_b32_e32 v2, v7
	v_mad_u64_u32 v[7:8], s[0:1], s3, v8, v[2:3]
	v_mad_u64_u32 v[8:9], s[0:1], s2, v14, 0
	v_addc_co_u32_e32 v5, vcc, v1, v5, vcc
	v_pack_b32_f16 v10, v30, v29
	v_mov_b32_e32 v2, v9
	global_store_dword v[4:5], v10, off
	v_lshlrev_b64 v[4:5], 2, v[6:7]
	v_mad_u64_u32 v[6:7], s[0:1], s3, v14, v[2:3]
	v_add_co_u32_e32 v4, vcc, v0, v4
	v_addc_co_u32_e32 v5, vcc, v1, v5, vcc
	v_pack_b32_f16 v2, v24, v28
	v_mov_b32_e32 v9, v6
	global_store_dword v[4:5], v2, off
	v_lshlrev_b64 v[4:5], 2, v[8:9]
	v_add_u32_e32 v8, 0x320, v3
	v_mad_u64_u32 v[6:7], s[0:1], s2, v8, 0
	v_add_co_u32_e32 v4, vcc, v0, v4
	v_mov_b32_e32 v2, v7
	v_mad_u64_u32 v[7:8], s[0:1], s3, v8, v[2:3]
	v_add_u32_e32 v8, 0x374, v3
	v_mad_u64_u32 v[2:3], s[0:1], s2, v8, 0
	v_addc_co_u32_e32 v5, vcc, v1, v5, vcc
	v_pack_b32_f16 v9, v17, v22
	global_store_dword v[4:5], v9, off
	v_lshlrev_b64 v[4:5], 2, v[6:7]
	v_mad_u64_u32 v[6:7], s[0:1], s3, v8, v[3:4]
	v_add_co_u32_e32 v3, vcc, v0, v4
	v_addc_co_u32_e32 v4, vcc, v1, v5, vcc
	v_pack_b32_f16 v5, v13, v16
	global_store_dword v[3:4], v5, off
	v_mov_b32_e32 v3, v6
	v_lshlrev_b64 v[2:3], 2, v[2:3]
	v_add_co_u32_e32 v0, vcc, v0, v2
	v_addc_co_u32_e32 v1, vcc, v1, v3, vcc
	v_pack_b32_f16 v2, v11, v12
	global_store_dword v[0:1], v2, off
.LBB0_34:
	s_endpgm
	.section	.rodata,"a",@progbits
	.p2align	6, 0x0
	.amdhsa_kernel fft_rtc_back_len924_factors_2_2_3_7_11_wgs_44_tpt_44_halfLds_half_ip_CI_sbrr_dirReg
		.amdhsa_group_segment_fixed_size 0
		.amdhsa_private_segment_fixed_size 0
		.amdhsa_kernarg_size 88
		.amdhsa_user_sgpr_count 6
		.amdhsa_user_sgpr_private_segment_buffer 1
		.amdhsa_user_sgpr_dispatch_ptr 0
		.amdhsa_user_sgpr_queue_ptr 0
		.amdhsa_user_sgpr_kernarg_segment_ptr 1
		.amdhsa_user_sgpr_dispatch_id 0
		.amdhsa_user_sgpr_flat_scratch_init 0
		.amdhsa_user_sgpr_private_segment_size 0
		.amdhsa_uses_dynamic_stack 0
		.amdhsa_system_sgpr_private_segment_wavefront_offset 0
		.amdhsa_system_sgpr_workgroup_id_x 1
		.amdhsa_system_sgpr_workgroup_id_y 0
		.amdhsa_system_sgpr_workgroup_id_z 0
		.amdhsa_system_sgpr_workgroup_info 0
		.amdhsa_system_vgpr_workitem_id 0
		.amdhsa_next_free_vgpr 119
		.amdhsa_next_free_sgpr 24
		.amdhsa_reserve_vcc 1
		.amdhsa_reserve_flat_scratch 0
		.amdhsa_float_round_mode_32 0
		.amdhsa_float_round_mode_16_64 0
		.amdhsa_float_denorm_mode_32 3
		.amdhsa_float_denorm_mode_16_64 3
		.amdhsa_dx10_clamp 1
		.amdhsa_ieee_mode 1
		.amdhsa_fp16_overflow 0
		.amdhsa_exception_fp_ieee_invalid_op 0
		.amdhsa_exception_fp_denorm_src 0
		.amdhsa_exception_fp_ieee_div_zero 0
		.amdhsa_exception_fp_ieee_overflow 0
		.amdhsa_exception_fp_ieee_underflow 0
		.amdhsa_exception_fp_ieee_inexact 0
		.amdhsa_exception_int_div_zero 0
	.end_amdhsa_kernel
	.text
.Lfunc_end0:
	.size	fft_rtc_back_len924_factors_2_2_3_7_11_wgs_44_tpt_44_halfLds_half_ip_CI_sbrr_dirReg, .Lfunc_end0-fft_rtc_back_len924_factors_2_2_3_7_11_wgs_44_tpt_44_halfLds_half_ip_CI_sbrr_dirReg
                                        ; -- End function
	.section	.AMDGPU.csdata,"",@progbits
; Kernel info:
; codeLenInByte = 16304
; NumSgprs: 28
; NumVgprs: 119
; ScratchSize: 0
; MemoryBound: 0
; FloatMode: 240
; IeeeMode: 1
; LDSByteSize: 0 bytes/workgroup (compile time only)
; SGPRBlocks: 3
; VGPRBlocks: 29
; NumSGPRsForWavesPerEU: 28
; NumVGPRsForWavesPerEU: 119
; Occupancy: 2
; WaveLimiterHint : 1
; COMPUTE_PGM_RSRC2:SCRATCH_EN: 0
; COMPUTE_PGM_RSRC2:USER_SGPR: 6
; COMPUTE_PGM_RSRC2:TRAP_HANDLER: 0
; COMPUTE_PGM_RSRC2:TGID_X_EN: 1
; COMPUTE_PGM_RSRC2:TGID_Y_EN: 0
; COMPUTE_PGM_RSRC2:TGID_Z_EN: 0
; COMPUTE_PGM_RSRC2:TIDIG_COMP_CNT: 0
	.type	__hip_cuid_6171c73f962d246c,@object ; @__hip_cuid_6171c73f962d246c
	.section	.bss,"aw",@nobits
	.globl	__hip_cuid_6171c73f962d246c
__hip_cuid_6171c73f962d246c:
	.byte	0                               ; 0x0
	.size	__hip_cuid_6171c73f962d246c, 1

	.ident	"AMD clang version 19.0.0git (https://github.com/RadeonOpenCompute/llvm-project roc-6.4.0 25133 c7fe45cf4b819c5991fe208aaa96edf142730f1d)"
	.section	".note.GNU-stack","",@progbits
	.addrsig
	.addrsig_sym __hip_cuid_6171c73f962d246c
	.amdgpu_metadata
---
amdhsa.kernels:
  - .args:
      - .actual_access:  read_only
        .address_space:  global
        .offset:         0
        .size:           8
        .value_kind:     global_buffer
      - .offset:         8
        .size:           8
        .value_kind:     by_value
      - .actual_access:  read_only
        .address_space:  global
        .offset:         16
        .size:           8
        .value_kind:     global_buffer
      - .actual_access:  read_only
        .address_space:  global
        .offset:         24
        .size:           8
        .value_kind:     global_buffer
      - .offset:         32
        .size:           8
        .value_kind:     by_value
      - .actual_access:  read_only
        .address_space:  global
        .offset:         40
        .size:           8
        .value_kind:     global_buffer
      - .actual_access:  read_only
        .address_space:  global
        .offset:         48
        .size:           8
        .value_kind:     global_buffer
      - .offset:         56
        .size:           4
        .value_kind:     by_value
      - .actual_access:  read_only
        .address_space:  global
        .offset:         64
        .size:           8
        .value_kind:     global_buffer
      - .actual_access:  read_only
        .address_space:  global
        .offset:         72
        .size:           8
        .value_kind:     global_buffer
      - .address_space:  global
        .offset:         80
        .size:           8
        .value_kind:     global_buffer
    .group_segment_fixed_size: 0
    .kernarg_segment_align: 8
    .kernarg_segment_size: 88
    .language:       OpenCL C
    .language_version:
      - 2
      - 0
    .max_flat_workgroup_size: 44
    .name:           fft_rtc_back_len924_factors_2_2_3_7_11_wgs_44_tpt_44_halfLds_half_ip_CI_sbrr_dirReg
    .private_segment_fixed_size: 0
    .sgpr_count:     28
    .sgpr_spill_count: 0
    .symbol:         fft_rtc_back_len924_factors_2_2_3_7_11_wgs_44_tpt_44_halfLds_half_ip_CI_sbrr_dirReg.kd
    .uniform_work_group_size: 1
    .uses_dynamic_stack: false
    .vgpr_count:     119
    .vgpr_spill_count: 0
    .wavefront_size: 64
amdhsa.target:   amdgcn-amd-amdhsa--gfx906
amdhsa.version:
  - 1
  - 2
...

	.end_amdgpu_metadata
